;; amdgpu-corpus repo=ROCm/rocFFT kind=compiled arch=gfx1201 opt=O3
	.text
	.amdgcn_target "amdgcn-amd-amdhsa--gfx1201"
	.amdhsa_code_object_version 6
	.protected	fft_rtc_fwd_len1768_factors_17_13_8_wgs_136_tpt_136_halfLds_dp_ip_CI_unitstride_sbrr_R2C_dirReg ; -- Begin function fft_rtc_fwd_len1768_factors_17_13_8_wgs_136_tpt_136_halfLds_dp_ip_CI_unitstride_sbrr_R2C_dirReg
	.globl	fft_rtc_fwd_len1768_factors_17_13_8_wgs_136_tpt_136_halfLds_dp_ip_CI_unitstride_sbrr_R2C_dirReg
	.p2align	8
	.type	fft_rtc_fwd_len1768_factors_17_13_8_wgs_136_tpt_136_halfLds_dp_ip_CI_unitstride_sbrr_R2C_dirReg,@function
fft_rtc_fwd_len1768_factors_17_13_8_wgs_136_tpt_136_halfLds_dp_ip_CI_unitstride_sbrr_R2C_dirReg: ; @fft_rtc_fwd_len1768_factors_17_13_8_wgs_136_tpt_136_halfLds_dp_ip_CI_unitstride_sbrr_R2C_dirReg
; %bb.0:
	s_clause 0x2
	s_load_b128 s[4:7], s[0:1], 0x0
	s_load_b64 s[8:9], s[0:1], 0x50
	s_load_b64 s[10:11], s[0:1], 0x18
	v_mul_u32_u24_e32 v1, 0x1e2, v0
	v_mov_b32_e32 v3, 0
	s_delay_alu instid0(VALU_DEP_2) | instskip(NEXT) | instid1(VALU_DEP_1)
	v_lshrrev_b32_e32 v1, 16, v1
	v_add_nc_u32_e32 v5, ttmp9, v1
	v_mov_b32_e32 v1, 0
	v_mov_b32_e32 v2, 0
	;; [unrolled: 1-line block ×3, first 2 shown]
	s_wait_kmcnt 0x0
	v_cmp_lt_u64_e64 s2, s[6:7], 2
	s_delay_alu instid0(VALU_DEP_1)
	s_and_b32 vcc_lo, exec_lo, s2
	s_cbranch_vccnz .LBB0_8
; %bb.1:
	s_load_b64 s[2:3], s[0:1], 0x10
	v_mov_b32_e32 v1, 0
	v_mov_b32_e32 v2, 0
	s_add_nc_u64 s[12:13], s[10:11], 8
	s_mov_b64 s[14:15], 1
	s_wait_kmcnt 0x0
	s_add_nc_u64 s[16:17], s[2:3], 8
	s_mov_b32 s3, 0
.LBB0_2:                                ; =>This Inner Loop Header: Depth=1
	s_load_b64 s[18:19], s[16:17], 0x0
                                        ; implicit-def: $vgpr7_vgpr8
	s_mov_b32 s2, exec_lo
	s_wait_kmcnt 0x0
	v_or_b32_e32 v4, s19, v6
	s_delay_alu instid0(VALU_DEP_1)
	v_cmpx_ne_u64_e32 0, v[3:4]
	s_wait_alu 0xfffe
	s_xor_b32 s20, exec_lo, s2
	s_cbranch_execz .LBB0_4
; %bb.3:                                ;   in Loop: Header=BB0_2 Depth=1
	s_cvt_f32_u32 s2, s18
	s_cvt_f32_u32 s21, s19
	s_sub_nc_u64 s[24:25], 0, s[18:19]
	s_wait_alu 0xfffe
	s_delay_alu instid0(SALU_CYCLE_1) | instskip(SKIP_1) | instid1(SALU_CYCLE_2)
	s_fmamk_f32 s2, s21, 0x4f800000, s2
	s_wait_alu 0xfffe
	v_s_rcp_f32 s2, s2
	s_delay_alu instid0(TRANS32_DEP_1) | instskip(SKIP_1) | instid1(SALU_CYCLE_2)
	s_mul_f32 s2, s2, 0x5f7ffffc
	s_wait_alu 0xfffe
	s_mul_f32 s21, s2, 0x2f800000
	s_wait_alu 0xfffe
	s_delay_alu instid0(SALU_CYCLE_2) | instskip(SKIP_1) | instid1(SALU_CYCLE_2)
	s_trunc_f32 s21, s21
	s_wait_alu 0xfffe
	s_fmamk_f32 s2, s21, 0xcf800000, s2
	s_cvt_u32_f32 s23, s21
	s_wait_alu 0xfffe
	s_delay_alu instid0(SALU_CYCLE_1) | instskip(SKIP_1) | instid1(SALU_CYCLE_2)
	s_cvt_u32_f32 s22, s2
	s_wait_alu 0xfffe
	s_mul_u64 s[26:27], s[24:25], s[22:23]
	s_wait_alu 0xfffe
	s_mul_hi_u32 s29, s22, s27
	s_mul_i32 s28, s22, s27
	s_mul_hi_u32 s2, s22, s26
	s_mul_i32 s30, s23, s26
	s_wait_alu 0xfffe
	s_add_nc_u64 s[28:29], s[2:3], s[28:29]
	s_mul_hi_u32 s21, s23, s26
	s_mul_hi_u32 s31, s23, s27
	s_add_co_u32 s2, s28, s30
	s_wait_alu 0xfffe
	s_add_co_ci_u32 s2, s29, s21
	s_mul_i32 s26, s23, s27
	s_add_co_ci_u32 s27, s31, 0
	s_wait_alu 0xfffe
	s_add_nc_u64 s[26:27], s[2:3], s[26:27]
	s_wait_alu 0xfffe
	v_add_co_u32 v4, s2, s22, s26
	s_delay_alu instid0(VALU_DEP_1) | instskip(SKIP_1) | instid1(VALU_DEP_1)
	s_cmp_lg_u32 s2, 0
	s_add_co_ci_u32 s23, s23, s27
	v_readfirstlane_b32 s22, v4
	s_wait_alu 0xfffe
	s_delay_alu instid0(VALU_DEP_1)
	s_mul_u64 s[24:25], s[24:25], s[22:23]
	s_wait_alu 0xfffe
	s_mul_hi_u32 s27, s22, s25
	s_mul_i32 s26, s22, s25
	s_mul_hi_u32 s2, s22, s24
	s_mul_i32 s28, s23, s24
	s_wait_alu 0xfffe
	s_add_nc_u64 s[26:27], s[2:3], s[26:27]
	s_mul_hi_u32 s21, s23, s24
	s_mul_hi_u32 s22, s23, s25
	s_wait_alu 0xfffe
	s_add_co_u32 s2, s26, s28
	s_add_co_ci_u32 s2, s27, s21
	s_mul_i32 s24, s23, s25
	s_add_co_ci_u32 s25, s22, 0
	s_wait_alu 0xfffe
	s_add_nc_u64 s[24:25], s[2:3], s[24:25]
	s_wait_alu 0xfffe
	v_add_co_u32 v4, s2, v4, s24
	s_delay_alu instid0(VALU_DEP_1) | instskip(SKIP_1) | instid1(VALU_DEP_1)
	s_cmp_lg_u32 s2, 0
	s_add_co_ci_u32 s2, s23, s25
	v_mul_hi_u32 v13, v5, v4
	s_wait_alu 0xfffe
	v_mad_co_u64_u32 v[7:8], null, v5, s2, 0
	v_mad_co_u64_u32 v[9:10], null, v6, v4, 0
	;; [unrolled: 1-line block ×3, first 2 shown]
	s_delay_alu instid0(VALU_DEP_3) | instskip(SKIP_1) | instid1(VALU_DEP_4)
	v_add_co_u32 v4, vcc_lo, v13, v7
	s_wait_alu 0xfffd
	v_add_co_ci_u32_e32 v7, vcc_lo, 0, v8, vcc_lo
	s_delay_alu instid0(VALU_DEP_2) | instskip(SKIP_1) | instid1(VALU_DEP_2)
	v_add_co_u32 v4, vcc_lo, v4, v9
	s_wait_alu 0xfffd
	v_add_co_ci_u32_e32 v4, vcc_lo, v7, v10, vcc_lo
	s_wait_alu 0xfffd
	v_add_co_ci_u32_e32 v7, vcc_lo, 0, v12, vcc_lo
	s_delay_alu instid0(VALU_DEP_2) | instskip(SKIP_1) | instid1(VALU_DEP_2)
	v_add_co_u32 v4, vcc_lo, v4, v11
	s_wait_alu 0xfffd
	v_add_co_ci_u32_e32 v9, vcc_lo, 0, v7, vcc_lo
	s_delay_alu instid0(VALU_DEP_2) | instskip(SKIP_1) | instid1(VALU_DEP_3)
	v_mul_lo_u32 v10, s19, v4
	v_mad_co_u64_u32 v[7:8], null, s18, v4, 0
	v_mul_lo_u32 v11, s18, v9
	s_delay_alu instid0(VALU_DEP_2) | instskip(NEXT) | instid1(VALU_DEP_2)
	v_sub_co_u32 v7, vcc_lo, v5, v7
	v_add3_u32 v8, v8, v11, v10
	s_delay_alu instid0(VALU_DEP_1) | instskip(SKIP_1) | instid1(VALU_DEP_1)
	v_sub_nc_u32_e32 v10, v6, v8
	s_wait_alu 0xfffd
	v_subrev_co_ci_u32_e64 v10, s2, s19, v10, vcc_lo
	v_add_co_u32 v11, s2, v4, 2
	s_wait_alu 0xf1ff
	v_add_co_ci_u32_e64 v12, s2, 0, v9, s2
	v_sub_co_u32 v13, s2, v7, s18
	v_sub_co_ci_u32_e32 v8, vcc_lo, v6, v8, vcc_lo
	s_wait_alu 0xf1ff
	v_subrev_co_ci_u32_e64 v10, s2, 0, v10, s2
	s_delay_alu instid0(VALU_DEP_3) | instskip(NEXT) | instid1(VALU_DEP_3)
	v_cmp_le_u32_e32 vcc_lo, s18, v13
	v_cmp_eq_u32_e64 s2, s19, v8
	s_wait_alu 0xfffd
	v_cndmask_b32_e64 v13, 0, -1, vcc_lo
	v_cmp_le_u32_e32 vcc_lo, s19, v10
	s_wait_alu 0xfffd
	v_cndmask_b32_e64 v14, 0, -1, vcc_lo
	v_cmp_le_u32_e32 vcc_lo, s18, v7
	;; [unrolled: 3-line block ×3, first 2 shown]
	s_wait_alu 0xfffd
	v_cndmask_b32_e64 v15, 0, -1, vcc_lo
	v_cmp_eq_u32_e32 vcc_lo, s19, v10
	s_wait_alu 0xf1ff
	s_delay_alu instid0(VALU_DEP_2)
	v_cndmask_b32_e64 v7, v15, v7, s2
	s_wait_alu 0xfffd
	v_cndmask_b32_e32 v10, v14, v13, vcc_lo
	v_add_co_u32 v13, vcc_lo, v4, 1
	s_wait_alu 0xfffd
	v_add_co_ci_u32_e32 v14, vcc_lo, 0, v9, vcc_lo
	s_delay_alu instid0(VALU_DEP_3) | instskip(SKIP_2) | instid1(VALU_DEP_3)
	v_cmp_ne_u32_e32 vcc_lo, 0, v10
	s_wait_alu 0xfffd
	v_cndmask_b32_e32 v10, v13, v11, vcc_lo
	v_cndmask_b32_e32 v8, v14, v12, vcc_lo
	v_cmp_ne_u32_e32 vcc_lo, 0, v7
	s_wait_alu 0xfffd
	s_delay_alu instid0(VALU_DEP_2)
	v_dual_cndmask_b32 v7, v4, v10 :: v_dual_cndmask_b32 v8, v9, v8
.LBB0_4:                                ;   in Loop: Header=BB0_2 Depth=1
	s_wait_alu 0xfffe
	s_and_not1_saveexec_b32 s2, s20
	s_cbranch_execz .LBB0_6
; %bb.5:                                ;   in Loop: Header=BB0_2 Depth=1
	v_cvt_f32_u32_e32 v4, s18
	s_sub_co_i32 s20, 0, s18
	s_delay_alu instid0(VALU_DEP_1) | instskip(NEXT) | instid1(TRANS32_DEP_1)
	v_rcp_iflag_f32_e32 v4, v4
	v_mul_f32_e32 v4, 0x4f7ffffe, v4
	s_delay_alu instid0(VALU_DEP_1) | instskip(SKIP_1) | instid1(VALU_DEP_1)
	v_cvt_u32_f32_e32 v4, v4
	s_wait_alu 0xfffe
	v_mul_lo_u32 v7, s20, v4
	s_delay_alu instid0(VALU_DEP_1) | instskip(NEXT) | instid1(VALU_DEP_1)
	v_mul_hi_u32 v7, v4, v7
	v_add_nc_u32_e32 v4, v4, v7
	s_delay_alu instid0(VALU_DEP_1) | instskip(NEXT) | instid1(VALU_DEP_1)
	v_mul_hi_u32 v4, v5, v4
	v_mul_lo_u32 v7, v4, s18
	v_add_nc_u32_e32 v8, 1, v4
	s_delay_alu instid0(VALU_DEP_2) | instskip(NEXT) | instid1(VALU_DEP_1)
	v_sub_nc_u32_e32 v7, v5, v7
	v_subrev_nc_u32_e32 v9, s18, v7
	v_cmp_le_u32_e32 vcc_lo, s18, v7
	s_wait_alu 0xfffd
	s_delay_alu instid0(VALU_DEP_2) | instskip(NEXT) | instid1(VALU_DEP_1)
	v_dual_cndmask_b32 v7, v7, v9 :: v_dual_cndmask_b32 v4, v4, v8
	v_cmp_le_u32_e32 vcc_lo, s18, v7
	s_delay_alu instid0(VALU_DEP_2) | instskip(SKIP_1) | instid1(VALU_DEP_1)
	v_add_nc_u32_e32 v8, 1, v4
	s_wait_alu 0xfffd
	v_dual_cndmask_b32 v7, v4, v8 :: v_dual_mov_b32 v8, v3
.LBB0_6:                                ;   in Loop: Header=BB0_2 Depth=1
	s_wait_alu 0xfffe
	s_or_b32 exec_lo, exec_lo, s2
	s_load_b64 s[20:21], s[12:13], 0x0
	s_delay_alu instid0(VALU_DEP_1)
	v_mul_lo_u32 v4, v8, s18
	v_mul_lo_u32 v11, v7, s19
	v_mad_co_u64_u32 v[9:10], null, v7, s18, 0
	s_add_nc_u64 s[14:15], s[14:15], 1
	s_add_nc_u64 s[12:13], s[12:13], 8
	s_wait_alu 0xfffe
	v_cmp_ge_u64_e64 s2, s[14:15], s[6:7]
	s_add_nc_u64 s[16:17], s[16:17], 8
	s_delay_alu instid0(VALU_DEP_2) | instskip(NEXT) | instid1(VALU_DEP_3)
	v_add3_u32 v4, v10, v11, v4
	v_sub_co_u32 v5, vcc_lo, v5, v9
	s_wait_alu 0xfffd
	s_delay_alu instid0(VALU_DEP_2) | instskip(SKIP_3) | instid1(VALU_DEP_2)
	v_sub_co_ci_u32_e32 v4, vcc_lo, v6, v4, vcc_lo
	s_and_b32 vcc_lo, exec_lo, s2
	s_wait_kmcnt 0x0
	v_mul_lo_u32 v6, s21, v5
	v_mul_lo_u32 v4, s20, v4
	v_mad_co_u64_u32 v[1:2], null, s20, v5, v[1:2]
	s_delay_alu instid0(VALU_DEP_1)
	v_add3_u32 v2, v6, v2, v4
	s_wait_alu 0xfffe
	s_cbranch_vccnz .LBB0_9
; %bb.7:                                ;   in Loop: Header=BB0_2 Depth=1
	v_dual_mov_b32 v5, v7 :: v_dual_mov_b32 v6, v8
	s_branch .LBB0_2
.LBB0_8:
	v_dual_mov_b32 v8, v6 :: v_dual_mov_b32 v7, v5
.LBB0_9:
	s_lshl_b64 s[2:3], s[6:7], 3
	v_mul_hi_u32 v3, 0x1e1e1e2, v0
	s_wait_alu 0xfffe
	s_add_nc_u64 s[2:3], s[10:11], s[2:3]
	s_load_b64 s[2:3], s[2:3], 0x0
	s_load_b64 s[0:1], s[0:1], 0x20
	s_delay_alu instid0(VALU_DEP_1) | instskip(NEXT) | instid1(VALU_DEP_1)
	v_mul_u32_u24_e32 v3, 0x88, v3
	v_sub_nc_u32_e32 v80, v0, v3
	s_delay_alu instid0(VALU_DEP_1)
	v_lshl_add_u32 v244, v80, 4, 0
	s_wait_kmcnt 0x0
	v_mul_lo_u32 v4, s2, v8
	v_mul_lo_u32 v5, s3, v7
	v_mad_co_u64_u32 v[1:2], null, s2, v7, v[1:2]
	v_cmp_gt_u64_e32 vcc_lo, s[0:1], v[7:8]
	s_delay_alu instid0(VALU_DEP_2) | instskip(NEXT) | instid1(VALU_DEP_1)
	v_add3_u32 v2, v5, v2, v4
	v_lshlrev_b64_e32 v[0:1], 4, v[1:2]
	scratch_store_b64 off, v[0:1], off      ; 8-byte Folded Spill
	s_and_saveexec_b32 s1, vcc_lo
	s_cbranch_execz .LBB0_11
; %bb.10:
	scratch_load_b64 v[2:3], off, off       ; 8-byte Folded Reload
	v_mov_b32_e32 v81, 0
	s_delay_alu instid0(VALU_DEP_1) | instskip(SKIP_4) | instid1(VALU_DEP_2)
	v_lshlrev_b64_e32 v[0:1], 4, v[80:81]
	s_wait_loadcnt 0x0
	v_add_co_u32 v2, s0, s8, v2
	s_wait_alu 0xf1ff
	v_add_co_ci_u32_e64 v3, s0, s9, v3, s0
	v_add_co_u32 v48, s0, v2, v0
	s_wait_alu 0xf1ff
	s_delay_alu instid0(VALU_DEP_2)
	v_add_co_ci_u32_e64 v49, s0, v3, v1, s0
	s_clause 0xc
	global_load_b128 v[0:3], v[48:49], off
	global_load_b128 v[4:7], v[48:49], off offset:2176
	global_load_b128 v[8:11], v[48:49], off offset:4352
	global_load_b128 v[12:15], v[48:49], off offset:6528
	global_load_b128 v[16:19], v[48:49], off offset:8704
	global_load_b128 v[20:23], v[48:49], off offset:10880
	global_load_b128 v[24:27], v[48:49], off offset:13056
	global_load_b128 v[28:31], v[48:49], off offset:15232
	global_load_b128 v[32:35], v[48:49], off offset:17408
	global_load_b128 v[36:39], v[48:49], off offset:19584
	global_load_b128 v[40:43], v[48:49], off offset:21760
	global_load_b128 v[44:47], v[48:49], off offset:23936
	global_load_b128 v[48:51], v[48:49], off offset:26112
	s_wait_loadcnt 0xc
	ds_store_b128 v244, v[0:3]
	s_wait_loadcnt 0xb
	ds_store_b128 v244, v[4:7] offset:2176
	s_wait_loadcnt 0xa
	ds_store_b128 v244, v[8:11] offset:4352
	;; [unrolled: 2-line block ×12, first 2 shown]
.LBB0_11:
	s_wait_alu 0xfffe
	s_or_b32 exec_lo, exec_lo, s1
	global_wb scope:SCOPE_SE
	s_wait_storecnt_dscnt 0x0
	s_barrier_signal -1
	s_barrier_wait -1
	global_inv scope:SCOPE_SE
	ds_load_b128 v[12:15], v244 offset:26624
	ds_load_b128 v[32:35], v244 offset:1664
	ds_load_b128 v[16:19], v244
	ds_load_b128 v[20:23], v244 offset:24960
	ds_load_b128 v[40:43], v244 offset:3328
	;; [unrolled: 1-line block ×3, first 2 shown]
	s_mov_b32 s14, 0x2a9d6da3
	s_mov_b32 s15, 0xbfe58eea
	ds_load_b128 v[24:27], v244 offset:23296
	s_mov_b32 s2, 0x75d4884
	s_mov_b32 s12, 0xeb564b22
	;; [unrolled: 1-line block ×4, first 2 shown]
	ds_load_b128 v[28:31], v244 offset:21632
	ds_load_b128 v[48:51], v244 offset:6656
	s_mov_b32 s6, 0x3259b75e
	s_mov_b32 s10, 0x6c9a05f6
	;; [unrolled: 1-line block ×6, first 2 shown]
	ds_load_b128 v[52:55], v244 offset:8320
	ds_load_b128 v[44:47], v244 offset:19968
	s_mov_b32 s18, 0x6ed5f1bb
	s_mov_b32 s28, 0xacd6c6b4
	s_wait_dscnt 0x9
	v_add_f64_e64 v[154:155], v[34:35], -v[14:15]
	v_add_f64_e64 v[156:157], v[32:33], -v[12:13]
	v_add_f64_e32 v[150:151], v[32:33], v[12:13]
	s_wait_dscnt 0x6
	v_add_f64_e64 v[90:91], v[42:43], -v[22:23]
	v_add_f64_e32 v[160:161], v[34:35], v[14:15]
	v_add_f64_e64 v[84:85], v[40:41], -v[20:21]
	v_add_f64_e32 v[86:87], v[40:41], v[20:21]
	s_wait_dscnt 0x4
	v_add_f64_e64 v[92:93], v[38:39], -v[26:27]
	v_add_f64_e32 v[94:95], v[42:43], v[22:23]
	v_add_f64_e64 v[88:89], v[36:37], -v[24:25]
	v_add_f64_e32 v[96:97], v[36:37], v[24:25]
	v_add_f64_e32 v[102:103], v[38:39], v[26:27]
	s_wait_dscnt 0x2
	v_add_f64_e64 v[100:101], v[50:51], -v[30:31]
	v_add_f64_e64 v[98:99], v[48:49], -v[28:29]
	s_mov_b32 s20, 0x2b2883cd
	s_mov_b32 s19, 0xbfe348c8
	;; [unrolled: 1-line block ×4, first 2 shown]
	v_add_f64_e32 v[108:109], v[48:49], v[28:29]
	s_wait_dscnt 0x0
	v_add_f64_e64 v[120:121], v[54:55], -v[46:47]
	v_add_f64_e64 v[110:111], v[52:53], -v[44:45]
	v_add_f64_e32 v[124:125], v[50:51], v[30:31]
	ds_load_b128 v[56:59], v244 offset:18304
	ds_load_b128 v[64:67], v244 offset:9984
	s_mov_b32 s22, 0x7faef3
	s_mov_b32 s26, 0x4363dd80
	;; [unrolled: 1-line block ×8, first 2 shown]
	v_add_f64_e32 v[112:113], v[52:53], v[44:45]
	v_add_f64_e32 v[134:135], v[54:55], v[46:47]
	ds_load_b128 v[68:71], v244 offset:11648
	ds_load_b128 v[60:63], v244 offset:16640
	s_mov_b32 s34, 0x910ea3b9
	s_mov_b32 s36, 0xc61f0d01
	;; [unrolled: 1-line block ×3, first 2 shown]
	s_wait_alu 0xfffe
	v_mul_f64_e32 v[164:165], s[14:15], v[154:155]
	v_mul_f64_e32 v[166:167], s[14:15], v[156:157]
	;; [unrolled: 1-line block ×16, first 2 shown]
	s_wait_dscnt 0x2
	v_add_f64_e64 v[132:133], v[66:67], -v[58:59]
	v_add_f64_e64 v[114:115], v[64:65], -v[56:57]
	v_mul_f64_e32 v[176:177], s[24:25], v[92:93]
	v_mul_f64_e32 v[200:201], s[26:27], v[120:121]
	;; [unrolled: 1-line block ×6, first 2 shown]
	s_mov_b32 s35, 0xbfeb34fa
	s_mov_b32 s37, 0xbfd183b1
	;; [unrolled: 1-line block ×3, first 2 shown]
	v_add_f64_e32 v[116:117], v[64:65], v[56:57]
	v_add_f64_e32 v[140:141], v[66:67], v[58:59]
	s_wait_dscnt 0x0
	v_add_f64_e64 v[138:139], v[70:71], -v[62:63]
	v_add_f64_e64 v[118:119], v[68:69], -v[60:61]
	v_mul_f64_e32 v[194:195], s[30:31], v[100:101]
	v_mul_f64_e32 v[198:199], s[30:31], v[98:99]
	;; [unrolled: 1-line block ×4, first 2 shown]
	s_mov_b32 s42, 0x370991
	s_mov_b32 s39, 0x3feca52d
	;; [unrolled: 1-line block ×3, first 2 shown]
	v_fma_f64 v[0:1], v[150:151], s[2:3], v[164:165]
	v_fma_f64 v[2:3], v[160:161], s[2:3], -v[166:167]
	s_mov_b32 s41, 0x3fe58eea
	v_fma_f64 v[4:5], v[86:87], s[6:7], v[104:105]
	s_mov_b32 s38, s16
	v_fma_f64 v[6:7], v[94:95], s[6:7], -v[106:107]
	v_fma_f64 v[72:73], v[150:151], s[6:7], v[240:241]
	v_fma_f64 v[8:9], v[96:97], s[18:19], v[122:123]
	v_fma_f64 v[74:75], v[160:161], s[6:7], -v[242:243]
	v_fma_f64 v[10:11], v[102:103], s[18:19], -v[126:127]
	s_mov_b32 s40, s14
	v_mul_f64_e32 v[178:179], s[16:17], v[120:121]
	v_fma_f64 v[128:129], v[108:109], s[22:23], v[182:183]
	v_fma_f64 v[130:131], v[124:125], s[22:23], -v[188:189]
	v_fma_f64 v[136:137], v[86:87], s[22:23], v[146:147]
	v_fma_f64 v[144:145], v[94:95], s[22:23], -v[152:153]
	v_mul_f64_e32 v[208:209], s[30:31], v[132:133]
	v_mul_f64_e32 v[212:213], s[30:31], v[114:115]
	v_fma_f64 v[190:191], v[96:97], s[22:23], v[176:177]
	v_fma_f64 v[184:185], v[112:113], s[34:35], v[200:201]
	v_fma_f64 v[186:187], v[134:135], s[34:35], -v[204:205]
	v_mul_f64_e32 v[210:211], s[40:41], v[120:121]
	v_mul_f64_e32 v[214:215], s[40:41], v[110:111]
	v_fma_f64 v[192:193], v[102:103], s[36:37], -v[162:163]
	s_mov_b32 s47, 0xbfd71e95
	s_mov_b32 s51, 0xbfe0d888
	;; [unrolled: 1-line block ×4, first 2 shown]
	v_mul_f64_e32 v[216:217], s[46:47], v[132:133]
	v_mul_f64_e32 v[218:219], s[38:39], v[138:139]
	;; [unrolled: 1-line block ×3, first 2 shown]
	v_fma_f64 v[206:207], v[108:109], s[36:37], v[194:195]
	v_fma_f64 v[224:225], v[124:125], s[36:37], -v[198:199]
	v_mul_f64_e32 v[220:221], s[46:47], v[114:115]
	v_fma_f64 v[226:227], v[124:125], s[42:43], -v[172:173]
	s_mov_b32 s49, 0x3fe9895b
	s_mov_b32 s48, s10
	s_mov_b32 s33, exec_lo
	v_add_f64_e32 v[0:1], v[16:17], v[0:1]
	v_add_f64_e32 v[2:3], v[18:19], v[2:3]
	;; [unrolled: 1-line block ×4, first 2 shown]
	ds_load_b128 v[76:79], v244 offset:13312
	ds_load_b128 v[72:75], v244 offset:14976
	global_wb scope:SCOPE_SE
	s_wait_dscnt 0x0
	v_fma_f64 v[245:246], v[112:113], s[20:21], v[178:179]
	s_barrier_signal -1
	s_barrier_wait -1
	global_inv scope:SCOPE_SE
	v_fma_f64 v[196:197], v[116:117], s[36:37], v[208:209]
	v_fma_f64 v[202:203], v[140:141], s[36:37], -v[212:213]
	v_fma_f64 v[253:254], v[116:117], s[42:43], v[216:217]
	v_fma_f64 v[81:82], v[140:141], s[42:43], -v[220:221]
	v_add_f64_e32 v[0:1], v[4:5], v[0:1]
	v_add_f64_e32 v[2:3], v[6:7], v[2:3]
	v_fma_f64 v[4:5], v[150:151], s[20:21], v[236:237]
	v_fma_f64 v[6:7], v[160:161], s[20:21], -v[238:239]
	v_add_f64_e32 v[136:137], v[136:137], v[142:143]
	v_add_f64_e64 v[142:143], v[78:79], -v[74:75]
	v_add_f64_e32 v[148:149], v[144:145], v[148:149]
	v_add_f64_e32 v[144:145], v[70:71], v[62:63]
	v_add_f64_e32 v[0:1], v[8:9], v[0:1]
	v_add_f64_e32 v[2:3], v[10:11], v[2:3]
	v_fma_f64 v[8:9], v[86:87], s[18:19], v[170:171]
	v_add_f64_e32 v[4:5], v[16:17], v[4:5]
	v_fma_f64 v[10:11], v[94:95], s[18:19], -v[174:175]
	v_add_f64_e32 v[6:7], v[18:19], v[6:7]
	v_mul_f64_e32 v[228:229], s[44:45], v[142:143]
	v_add_f64_e32 v[192:193], v[192:193], v[148:149]
	v_add_f64_e32 v[148:149], v[78:79], v[74:75]
	v_fma_f64 v[234:235], v[144:145], s[20:21], -v[222:223]
	v_add_f64_e32 v[0:1], v[128:129], v[0:1]
	v_add_f64_e32 v[2:3], v[130:131], v[2:3]
	v_add_f64_e32 v[128:129], v[68:69], v[60:61]
	v_add_f64_e32 v[4:5], v[8:9], v[4:5]
	v_fma_f64 v[8:9], v[102:103], s[22:23], -v[180:181]
	v_add_f64_e32 v[6:7], v[10:11], v[6:7]
	v_fma_f64 v[10:11], v[96:97], s[36:37], v[158:159]
	v_add_f64_e64 v[130:131], v[76:77], -v[72:73]
	v_add_f64_e32 v[247:248], v[226:227], v[192:193]
	v_mul_f64_e32 v[226:227], s[12:13], v[118:119]
	v_mul_f64_e32 v[192:193], s[48:49], v[138:139]
	v_add_f64_e32 v[0:1], v[184:185], v[0:1]
	v_add_f64_e32 v[2:3], v[186:187], v[2:3]
	v_mul_f64_e32 v[184:185], s[16:17], v[110:111]
	v_add_f64_e32 v[4:5], v[190:191], v[4:5]
	v_mul_f64_e32 v[186:187], s[50:51], v[132:133]
	v_add_f64_e32 v[6:7], v[8:9], v[6:7]
	v_fma_f64 v[8:9], v[108:109], s[42:43], v[168:169]
	v_add_f64_e32 v[10:11], v[10:11], v[136:137]
	v_add_f64_e32 v[136:137], v[76:77], v[72:73]
	v_mul_f64_e32 v[232:233], s[44:45], v[130:131]
	v_fma_f64 v[230:231], v[128:129], s[20:21], v[218:219]
	v_mul_f64_e32 v[190:191], s[50:51], v[114:115]
	v_add_f64_e32 v[0:1], v[196:197], v[0:1]
	v_add_f64_e32 v[2:3], v[202:203], v[2:3]
	v_fma_f64 v[202:203], v[112:113], s[2:3], v[210:211]
	v_add_f64_e32 v[4:5], v[206:207], v[4:5]
	v_fma_f64 v[206:207], v[134:135], s[2:3], -v[214:215]
	v_add_f64_e32 v[6:7], v[224:225], v[6:7]
	v_mul_f64_e32 v[224:225], s[12:13], v[138:139]
	v_add_f64_e32 v[8:9], v[8:9], v[10:11]
	v_fma_f64 v[10:11], v[134:135], s[20:21], -v[184:185]
	v_fma_f64 v[249:250], v[136:137], s[42:43], v[228:229]
	v_fma_f64 v[251:252], v[148:149], s[42:43], -v[232:233]
	v_mul_f64_e32 v[196:197], s[48:49], v[118:119]
	v_add_f64_e32 v[0:1], v[230:231], v[0:1]
	v_add_f64_e32 v[2:3], v[234:235], v[2:3]
	v_mul_f64_e32 v[230:231], s[50:51], v[142:143]
	v_add_f64_e32 v[4:5], v[202:203], v[4:5]
	v_mul_f64_e32 v[234:235], s[50:51], v[130:131]
	v_add_f64_e32 v[6:7], v[206:207], v[6:7]
	v_fma_f64 v[206:207], v[116:117], s[34:35], v[186:187]
	v_add_f64_e32 v[8:9], v[245:246], v[8:9]
	v_fma_f64 v[245:246], v[140:141], s[34:35], -v[190:191]
	v_add_f64_e32 v[10:11], v[10:11], v[247:248]
	v_mul_f64_e32 v[202:203], s[40:41], v[142:143]
	v_fma_f64 v[247:248], v[128:129], s[6:7], v[224:225]
	v_add_f64_e32 v[0:1], v[249:250], v[0:1]
	v_add_f64_e32 v[2:3], v[251:252], v[2:3]
	v_fma_f64 v[249:250], v[144:145], s[6:7], -v[226:227]
	v_add_f64_e32 v[4:5], v[253:254], v[4:5]
	v_fma_f64 v[251:252], v[144:145], s[18:19], -v[196:197]
	v_add_f64_e32 v[6:7], v[81:82], v[6:7]
	v_fma_f64 v[81:82], v[128:129], s[18:19], v[192:193]
	v_add_f64_e32 v[8:9], v[206:207], v[8:9]
	v_mul_f64_e32 v[206:207], s[40:41], v[130:131]
	v_add_f64_e32 v[10:11], v[245:246], v[10:11]
	v_fma_f64 v[245:246], v[136:137], s[34:35], v[230:231]
	v_add_f64_e32 v[4:5], v[247:248], v[4:5]
	v_fma_f64 v[247:248], v[148:149], s[34:35], -v[234:235]
	v_add_f64_e32 v[6:7], v[249:250], v[6:7]
	v_fma_f64 v[249:250], v[136:137], s[2:3], v[202:203]
	v_add_f64_e32 v[81:82], v[81:82], v[8:9]
	v_fma_f64 v[253:254], v[148:149], s[2:3], -v[206:207]
	v_add_f64_e32 v[251:252], v[251:252], v[10:11]
	v_add_f64_e32 v[8:9], v[245:246], v[4:5]
	;; [unrolled: 1-line block ×4, first 2 shown]
	s_delay_alu instid0(VALU_DEP_4)
	v_add_f64_e32 v[6:7], v[253:254], v[251:252]
	v_cmpx_gt_u32_e32 0x68, v80
	s_cbranch_execz .LBB0_13
; %bb.12:
	v_add_f64_e32 v[32:33], v[16:17], v[32:33]
	v_add_f64_e32 v[34:35], v[18:19], v[34:35]
	s_mov_b32 s53, 0xbfeec746
	s_mov_b32 s52, s30
	;; [unrolled: 1-line block ×4, first 2 shown]
	s_delay_alu instid0(VALU_DEP_2) | instskip(NEXT) | instid1(VALU_DEP_2)
	v_add_f64_e32 v[32:33], v[32:33], v[40:41]
	v_add_f64_e32 v[34:35], v[34:35], v[42:43]
	v_mul_f64_e32 v[40:41], s[42:43], v[160:161]
	s_delay_alu instid0(VALU_DEP_3) | instskip(NEXT) | instid1(VALU_DEP_3)
	v_add_f64_e32 v[32:33], v[32:33], v[36:37]
	v_add_f64_e32 v[34:35], v[34:35], v[38:39]
	v_mul_f64_e32 v[38:39], s[36:37], v[160:161]
	v_mul_f64_e32 v[36:37], s[18:19], v[160:161]
	s_delay_alu instid0(VALU_DEP_4) | instskip(NEXT) | instid1(VALU_DEP_4)
	v_add_f64_e32 v[32:33], v[32:33], v[48:49]
	v_add_f64_e32 v[34:35], v[34:35], v[50:51]
	s_delay_alu instid0(VALU_DEP_4)
	v_fma_f64 v[48:49], v[156:157], s[30:31], v[38:39]
	v_fma_f64 v[38:39], v[156:157], s[52:53], v[38:39]
	;; [unrolled: 1-line block ×4, first 2 shown]
	v_add_f64_e32 v[32:33], v[32:33], v[52:53]
	v_add_f64_e32 v[34:35], v[34:35], v[54:55]
	v_mul_f64_e32 v[52:53], s[28:29], v[154:155]
	v_mul_f64_e32 v[54:55], s[50:51], v[154:155]
	s_delay_alu instid0(VALU_DEP_4) | instskip(NEXT) | instid1(VALU_DEP_4)
	v_add_f64_e32 v[32:33], v[32:33], v[64:65]
	v_add_f64_e32 v[34:35], v[34:35], v[66:67]
	s_delay_alu instid0(VALU_DEP_3) | instskip(SKIP_1) | instid1(VALU_DEP_4)
	v_fma_f64 v[64:65], v[150:151], s[34:35], v[54:55]
	v_fma_f64 v[54:55], v[150:151], s[34:35], -v[54:55]
	v_add_f64_e32 v[32:33], v[32:33], v[68:69]
	s_delay_alu instid0(VALU_DEP_4) | instskip(NEXT) | instid1(VALU_DEP_4)
	v_add_f64_e32 v[34:35], v[34:35], v[70:71]
	v_add_f64_e32 v[64:65], v[16:17], v[64:65]
	s_delay_alu instid0(VALU_DEP_4) | instskip(NEXT) | instid1(VALU_DEP_4)
	v_add_f64_e32 v[54:55], v[16:17], v[54:55]
	v_add_f64_e32 v[32:33], v[32:33], v[76:77]
	s_delay_alu instid0(VALU_DEP_4) | instskip(SKIP_1) | instid1(VALU_DEP_3)
	v_add_f64_e32 v[34:35], v[34:35], v[78:79]
	v_add_f64_e32 v[76:77], v[18:19], v[38:39]
	;; [unrolled: 1-line block ×3, first 2 shown]
	s_delay_alu instid0(VALU_DEP_3) | instskip(SKIP_1) | instid1(VALU_DEP_3)
	v_add_f64_e32 v[34:35], v[34:35], v[74:75]
	v_add_f64_e32 v[74:75], v[18:19], v[48:49]
	;; [unrolled: 1-line block ×3, first 2 shown]
	s_delay_alu instid0(VALU_DEP_3)
	v_add_f64_e32 v[34:35], v[34:35], v[62:63]
	v_mul_f64_e32 v[60:61], s[52:53], v[154:155]
	v_fma_f64 v[62:63], v[150:151], s[22:23], v[52:53]
	v_fma_f64 v[52:53], v[150:151], s[22:23], -v[52:53]
	v_add_f64_e32 v[32:33], v[32:33], v[56:57]
	v_add_f64_e32 v[34:35], v[34:35], v[58:59]
	v_mul_f64_e32 v[56:57], s[10:11], v[154:155]
	v_mul_f64_e32 v[58:59], s[46:47], v[154:155]
	v_fma_f64 v[70:71], v[150:151], s[36:37], v[60:61]
	v_fma_f64 v[60:61], v[150:151], s[36:37], -v[60:61]
	v_add_f64_e32 v[62:63], v[16:17], v[62:63]
	v_add_f64_e32 v[52:53], v[16:17], v[52:53]
	;; [unrolled: 1-line block ×5, first 2 shown]
	v_fma_f64 v[66:67], v[150:151], s[18:19], v[56:57]
	v_fma_f64 v[56:57], v[150:151], s[18:19], -v[56:57]
	v_fma_f64 v[68:69], v[150:151], s[42:43], v[58:59]
	v_fma_f64 v[58:59], v[150:151], s[42:43], -v[58:59]
	v_add_f64_e32 v[70:71], v[16:17], v[70:71]
	v_add_f64_e32 v[60:61], v[16:17], v[60:61]
	v_fma_f64 v[46:47], v[156:157], s[48:49], v[36:37]
	v_fma_f64 v[36:37], v[156:157], s[10:11], v[36:37]
	v_add_f64_e32 v[28:29], v[32:33], v[28:29]
	v_add_f64_e32 v[30:31], v[34:35], v[30:31]
	v_mul_f64_e32 v[32:33], s[22:23], v[160:161]
	v_mul_f64_e32 v[34:35], s[34:35], v[160:161]
	v_add_f64_e32 v[66:67], v[16:17], v[66:67]
	v_add_f64_e32 v[56:57], v[16:17], v[56:57]
	v_add_f64_e32 v[68:69], v[16:17], v[68:69]
	v_add_f64_e32 v[58:59], v[16:17], v[58:59]
	v_add_f64_e32 v[46:47], v[18:19], v[46:47]
	v_add_f64_e32 v[72:73], v[18:19], v[36:37]
	v_add_f64_e32 v[24:25], v[28:29], v[24:25]
	v_add_f64_e32 v[26:27], v[30:31], v[26:27]
	v_mul_f64_e32 v[30:31], s[2:3], v[150:151]
	v_fma_f64 v[42:43], v[156:157], s[24:25], v[32:33]
	v_mul_f64_e32 v[28:29], s[2:3], v[160:161]
	v_fma_f64 v[32:33], v[156:157], s[28:29], v[32:33]
	v_fma_f64 v[44:45], v[156:157], s[26:27], v[34:35]
	;; [unrolled: 1-line block ×3, first 2 shown]
	v_add_f64_e32 v[156:157], v[18:19], v[40:41]
	v_add_f64_e32 v[20:21], v[24:25], v[20:21]
	;; [unrolled: 1-line block ×3, first 2 shown]
	v_mul_f64_e32 v[24:25], s[20:21], v[160:161]
	v_mul_f64_e32 v[26:27], s[20:21], v[150:151]
	v_add_f64_e64 v[30:31], v[30:31], -v[164:165]
	v_add_f64_e32 v[42:43], v[18:19], v[42:43]
	v_add_f64_e32 v[28:29], v[166:167], v[28:29]
	;; [unrolled: 1-line block ×6, first 2 shown]
	v_mul_f64_e32 v[20:21], s[6:7], v[160:161]
	v_add_f64_e32 v[14:15], v[22:23], v[14:15]
	v_mul_f64_e32 v[22:23], s[6:7], v[150:151]
	v_add_f64_e32 v[24:25], v[238:239], v[24:25]
	v_add_f64_e64 v[26:27], v[26:27], -v[236:237]
	v_add_f64_e32 v[38:39], v[16:17], v[30:31]
	v_add_f64_e32 v[36:37], v[18:19], v[28:29]
	v_mul_f64_e32 v[236:237], s[6:7], v[148:149]
	s_wait_alu 0xfffe
	v_mul_f64_e32 v[238:239], s[0:1], v[142:143]
	v_add_f64_e32 v[20:21], v[242:243], v[20:21]
	v_add_f64_e64 v[22:23], v[22:23], -v[240:241]
	v_add_f64_e32 v[81:82], v[18:19], v[24:25]
	v_add_f64_e32 v[150:151], v[16:17], v[26:27]
	v_mul_f64_e32 v[24:25], s[34:35], v[102:103]
	v_mul_f64_e32 v[240:241], s[38:39], v[142:143]
	v_add_f64_e32 v[48:49], v[18:19], v[20:21]
	v_mul_f64_e32 v[20:21], s[42:43], v[94:95]
	v_add_f64_e32 v[78:79], v[16:17], v[22:23]
	v_mul_f64_e32 v[22:23], s[44:45], v[90:91]
	v_fma_f64 v[26:27], v[88:89], s[26:27], v[24:25]
	v_fma_f64 v[24:25], v[88:89], s[50:51], v[24:25]
	;; [unrolled: 1-line block ×5, first 2 shown]
	v_fma_f64 v[22:23], v[86:87], s[42:43], -v[22:23]
	s_delay_alu instid0(VALU_DEP_4) | instskip(NEXT) | instid1(VALU_DEP_4)
	v_add_f64_e32 v[16:17], v[16:17], v[42:43]
	v_add_f64_e32 v[20:21], v[20:21], v[32:33]
	s_delay_alu instid0(VALU_DEP_4) | instskip(NEXT) | instid1(VALU_DEP_4)
	v_add_f64_e32 v[18:19], v[18:19], v[62:63]
	v_add_f64_e32 v[22:23], v[22:23], v[52:53]
	v_mul_f64_e32 v[32:33], s[6:7], v[102:103]
	v_add_f64_e32 v[16:17], v[26:27], v[16:17]
	v_mul_f64_e32 v[26:27], s[50:51], v[92:93]
	v_add_f64_e32 v[20:21], v[24:25], v[20:21]
	s_delay_alu instid0(VALU_DEP_2) | instskip(SKIP_2) | instid1(VALU_DEP_3)
	v_fma_f64 v[28:29], v[96:97], s[34:35], v[26:27]
	v_fma_f64 v[24:25], v[96:97], s[34:35], -v[26:27]
	v_fma_f64 v[26:27], v[136:137], s[6:7], -v[238:239]
	v_add_f64_e32 v[18:19], v[28:29], v[18:19]
	v_mul_f64_e32 v[28:29], s[2:3], v[124:125]
	s_delay_alu instid0(VALU_DEP_4) | instskip(NEXT) | instid1(VALU_DEP_2)
	v_add_f64_e32 v[22:23], v[24:25], v[22:23]
	v_fma_f64 v[30:31], v[98:99], s[14:15], v[28:29]
	v_fma_f64 v[24:25], v[98:99], s[40:41], v[28:29]
	v_mul_f64_e32 v[28:29], s[20:21], v[94:95]
	s_delay_alu instid0(VALU_DEP_3) | instskip(SKIP_1) | instid1(VALU_DEP_4)
	v_add_f64_e32 v[16:17], v[30:31], v[16:17]
	v_mul_f64_e32 v[30:31], s[40:41], v[100:101]
	v_add_f64_e32 v[20:21], v[24:25], v[20:21]
	s_delay_alu instid0(VALU_DEP_2) | instskip(SKIP_2) | instid1(VALU_DEP_3)
	v_fma_f64 v[40:41], v[108:109], s[2:3], v[30:31]
	v_fma_f64 v[24:25], v[108:109], s[2:3], -v[30:31]
	v_mul_f64_e32 v[30:31], s[38:39], v[90:91]
	v_add_f64_e32 v[18:19], v[40:41], v[18:19]
	v_mul_f64_e32 v[40:41], s[18:19], v[134:135]
	s_delay_alu instid0(VALU_DEP_4) | instskip(NEXT) | instid1(VALU_DEP_2)
	v_add_f64_e32 v[22:23], v[24:25], v[22:23]
	v_fma_f64 v[42:43], v[110:111], s[48:49], v[40:41]
	v_fma_f64 v[24:25], v[110:111], s[10:11], v[40:41]
	;; [unrolled: 1-line block ×4, first 2 shown]
	s_delay_alu instid0(VALU_DEP_4) | instskip(SKIP_2) | instid1(VALU_DEP_2)
	v_add_f64_e32 v[16:17], v[42:43], v[16:17]
	v_mul_f64_e32 v[42:43], s[10:11], v[120:121]
	v_add_f64_e32 v[20:21], v[24:25], v[20:21]
	v_fma_f64 v[50:51], v[112:113], s[18:19], v[42:43]
	v_fma_f64 v[24:25], v[112:113], s[18:19], -v[42:43]
	s_delay_alu instid0(VALU_DEP_2) | instskip(SKIP_1) | instid1(VALU_DEP_3)
	v_add_f64_e32 v[18:19], v[50:51], v[18:19]
	v_mul_f64_e32 v[50:51], s[20:21], v[140:141]
	v_add_f64_e32 v[22:23], v[24:25], v[22:23]
	s_delay_alu instid0(VALU_DEP_2) | instskip(SKIP_1) | instid1(VALU_DEP_2)
	v_fma_f64 v[62:63], v[114:115], s[16:17], v[50:51]
	v_fma_f64 v[24:25], v[114:115], s[38:39], v[50:51]
	v_add_f64_e32 v[16:17], v[62:63], v[16:17]
	v_mul_f64_e32 v[62:63], s[38:39], v[132:133]
	s_delay_alu instid0(VALU_DEP_3) | instskip(NEXT) | instid1(VALU_DEP_2)
	v_add_f64_e32 v[20:21], v[24:25], v[20:21]
	v_fma_f64 v[160:161], v[116:117], s[20:21], v[62:63]
	v_fma_f64 v[24:25], v[116:117], s[20:21], -v[62:63]
	s_delay_alu instid0(VALU_DEP_2) | instskip(SKIP_1) | instid1(VALU_DEP_3)
	v_add_f64_e32 v[18:19], v[160:161], v[18:19]
	v_mul_f64_e32 v[160:161], s[36:37], v[144:145]
	v_add_f64_e32 v[22:23], v[24:25], v[22:23]
	s_delay_alu instid0(VALU_DEP_2) | instskip(SKIP_1) | instid1(VALU_DEP_2)
	v_fma_f64 v[164:165], v[118:119], s[30:31], v[160:161]
	v_fma_f64 v[24:25], v[118:119], s[52:53], v[160:161]
	v_add_f64_e32 v[16:17], v[164:165], v[16:17]
	v_mul_f64_e32 v[164:165], s[52:53], v[138:139]
	s_delay_alu instid0(VALU_DEP_3) | instskip(NEXT) | instid1(VALU_DEP_2)
	v_add_f64_e32 v[20:21], v[24:25], v[20:21]
	v_fma_f64 v[24:25], v[128:129], s[36:37], -v[164:165]
	v_fma_f64 v[166:167], v[128:129], s[36:37], v[164:165]
	s_delay_alu instid0(VALU_DEP_2) | instskip(SKIP_1) | instid1(VALU_DEP_3)
	v_add_f64_e32 v[24:25], v[24:25], v[22:23]
	v_fma_f64 v[22:23], v[130:131], s[0:1], v[236:237]
	v_add_f64_e32 v[166:167], v[166:167], v[18:19]
	v_fma_f64 v[18:19], v[130:131], s[12:13], v[236:237]
	v_mul_f64_e32 v[236:237], s[36:37], v[148:149]
	s_delay_alu instid0(VALU_DEP_4)
	v_add_f64_e32 v[22:23], v[22:23], v[20:21]
	v_add_f64_e32 v[20:21], v[26:27], v[24:25]
	v_fma_f64 v[24:25], v[84:85], s[16:17], v[28:29]
	v_fma_f64 v[26:27], v[86:87], s[20:21], v[30:31]
	v_fma_f64 v[28:29], v[84:85], s[38:39], v[28:29]
	v_fma_f64 v[30:31], v[86:87], s[20:21], -v[30:31]
	v_add_f64_e32 v[18:19], v[18:19], v[16:17]
	v_fma_f64 v[16:17], v[136:137], s[6:7], v[238:239]
	v_mul_f64_e32 v[238:239], s[52:53], v[142:143]
	v_add_f64_e32 v[24:25], v[24:25], v[44:45]
	v_add_f64_e32 v[26:27], v[26:27], v[64:65]
	;; [unrolled: 1-line block ×4, first 2 shown]
	v_mul_f64_e32 v[54:55], s[34:35], v[124:125]
	v_add_f64_e32 v[16:17], v[16:17], v[166:167]
	v_fma_f64 v[34:35], v[136:137], s[36:37], -v[238:239]
	v_add_f64_e32 v[24:25], v[40:41], v[24:25]
	v_mul_f64_e32 v[40:41], s[12:13], v[92:93]
	v_add_f64_e32 v[28:29], v[32:33], v[28:29]
	s_delay_alu instid0(VALU_DEP_2) | instskip(SKIP_1) | instid1(VALU_DEP_2)
	v_fma_f64 v[42:43], v[96:97], s[6:7], v[40:41]
	v_fma_f64 v[32:33], v[96:97], s[6:7], -v[40:41]
	v_add_f64_e32 v[26:27], v[42:43], v[26:27]
	v_mul_f64_e32 v[42:43], s[18:19], v[124:125]
	s_delay_alu instid0(VALU_DEP_3) | instskip(NEXT) | instid1(VALU_DEP_2)
	v_add_f64_e32 v[30:31], v[32:33], v[30:31]
	v_fma_f64 v[44:45], v[98:99], s[10:11], v[42:43]
	v_fma_f64 v[32:33], v[98:99], s[48:49], v[42:43]
	v_mul_f64_e32 v[42:43], s[22:23], v[124:125]
	s_delay_alu instid0(VALU_DEP_3) | instskip(SKIP_1) | instid1(VALU_DEP_4)
	v_add_f64_e32 v[24:25], v[44:45], v[24:25]
	v_mul_f64_e32 v[44:45], s[48:49], v[100:101]
	v_add_f64_e32 v[28:29], v[32:33], v[28:29]
	s_delay_alu instid0(VALU_DEP_4) | instskip(SKIP_1) | instid1(VALU_DEP_4)
	v_add_f64_e32 v[42:43], v[188:189], v[42:43]
	v_mul_f64_e32 v[188:189], s[18:19], v[102:103]
	v_fma_f64 v[50:51], v[108:109], s[18:19], v[44:45]
	v_fma_f64 v[32:33], v[108:109], s[18:19], -v[44:45]
	v_mul_f64_e32 v[44:45], s[36:37], v[94:95]
	s_delay_alu instid0(VALU_DEP_4) | instskip(SKIP_4) | instid1(VALU_DEP_4)
	v_add_f64_e32 v[126:127], v[126:127], v[188:189]
	v_mul_f64_e32 v[188:189], s[6:7], v[94:95]
	v_add_f64_e32 v[26:27], v[50:51], v[26:27]
	v_mul_f64_e32 v[50:51], s[42:43], v[134:135]
	v_add_f64_e32 v[30:31], v[32:33], v[30:31]
	v_add_f64_e32 v[106:107], v[106:107], v[188:189]
	v_mul_f64_e32 v[188:189], s[34:35], v[112:113]
	s_delay_alu instid0(VALU_DEP_4)
	v_fma_f64 v[52:53], v[110:111], s[44:45], v[50:51]
	v_fma_f64 v[32:33], v[110:111], s[46:47], v[50:51]
	v_mul_f64_e32 v[50:51], s[42:43], v[102:103]
	v_add_f64_e32 v[36:37], v[106:107], v[36:37]
	v_add_f64_e64 v[188:189], v[188:189], -v[200:201]
	v_mul_f64_e32 v[200:201], s[22:23], v[108:109]
	v_mul_f64_e32 v[106:107], s[20:21], v[144:145]
	v_add_f64_e32 v[24:25], v[52:53], v[24:25]
	v_mul_f64_e32 v[52:53], s[46:47], v[120:121]
	v_add_f64_e32 v[28:29], v[32:33], v[28:29]
	v_fma_f64 v[40:41], v[88:89], s[44:45], v[50:51]
	v_add_f64_e32 v[36:37], v[126:127], v[36:37]
	v_add_f64_e64 v[182:183], v[200:201], -v[182:183]
	v_mul_f64_e32 v[200:201], s[18:19], v[96:97]
	v_fma_f64 v[50:51], v[88:89], s[46:47], v[50:51]
	v_add_f64_e32 v[106:107], v[222:223], v[106:107]
	v_mul_f64_e32 v[126:127], s[36:37], v[108:109]
	v_fma_f64 v[62:63], v[112:113], s[42:43], v[52:53]
	v_fma_f64 v[32:33], v[112:113], s[42:43], -v[52:53]
	v_mul_f64_e32 v[52:53], s[46:47], v[92:93]
	v_add_f64_e32 v[36:37], v[42:43], v[36:37]
	v_mul_f64_e32 v[42:43], s[20:21], v[128:129]
	v_add_f64_e64 v[122:123], v[200:201], -v[122:123]
	v_mul_f64_e32 v[200:201], s[6:7], v[86:87]
	v_add_f64_e64 v[126:127], v[126:127], -v[194:195]
	v_add_f64_e32 v[26:27], v[62:63], v[26:27]
	v_mul_f64_e32 v[62:63], s[22:23], v[140:141]
	v_add_f64_e32 v[30:31], v[32:33], v[30:31]
	v_add_f64_e64 v[42:43], v[42:43], -v[218:219]
	v_add_f64_e64 v[104:105], v[200:201], -v[104:105]
	v_mul_f64_e32 v[200:201], s[36:37], v[140:141]
	v_fma_f64 v[64:65], v[114:115], s[24:25], v[62:63]
	v_fma_f64 v[32:33], v[114:115], s[28:29], v[62:63]
	v_mul_f64_e32 v[62:63], s[50:51], v[100:101]
	v_add_f64_e32 v[38:39], v[104:105], v[38:39]
	v_add_f64_e32 v[200:201], v[212:213], v[200:201]
	v_mul_f64_e32 v[104:105], s[36:37], v[116:117]
	v_add_f64_e32 v[24:25], v[64:65], v[24:25]
	v_mul_f64_e32 v[64:65], s[28:29], v[132:133]
	v_add_f64_e32 v[28:29], v[32:33], v[28:29]
	v_add_f64_e32 v[38:39], v[122:123], v[38:39]
	v_mul_f64_e32 v[122:123], s[2:3], v[112:113]
	v_add_f64_e64 v[104:105], v[104:105], -v[208:209]
	v_fma_f64 v[160:161], v[116:117], s[22:23], v[64:65]
	v_fma_f64 v[32:33], v[116:117], s[22:23], -v[64:65]
	v_mul_f64_e32 v[64:65], s[6:7], v[134:135]
	v_add_f64_e32 v[38:39], v[182:183], v[38:39]
	v_add_f64_e64 v[122:123], v[122:123], -v[210:211]
	v_add_f64_e32 v[26:27], v[160:161], v[26:27]
	v_mul_f64_e32 v[160:161], s[2:3], v[144:145]
	v_add_f64_e32 v[30:31], v[32:33], v[30:31]
	v_add_f64_e32 v[38:39], v[188:189], v[38:39]
	s_delay_alu instid0(VALU_DEP_3) | instskip(SKIP_2) | instid1(VALU_DEP_4)
	v_fma_f64 v[164:165], v[118:119], s[14:15], v[160:161]
	v_fma_f64 v[32:33], v[118:119], s[40:41], v[160:161]
	v_mul_f64_e32 v[160:161], s[2:3], v[140:141]
	v_add_f64_e32 v[38:39], v[104:105], v[38:39]
	v_mul_f64_e32 v[104:105], s[42:43], v[136:137]
	v_add_f64_e32 v[24:25], v[164:165], v[24:25]
	;; [unrolled: 2-line block ×3, first 2 shown]
	v_add_f64_e32 v[42:43], v[42:43], v[38:39]
	v_add_f64_e64 v[104:105], v[104:105], -v[228:229]
	s_delay_alu instid0(VALU_DEP_4) | instskip(SKIP_2) | instid1(VALU_DEP_3)
	v_fma_f64 v[32:33], v[128:129], s[2:3], -v[164:165]
	v_fma_f64 v[166:167], v[128:129], s[2:3], v[164:165]
	v_mul_f64_e32 v[164:165], s[14:15], v[132:133]
	v_add_f64_e32 v[32:33], v[32:33], v[30:31]
	v_fma_f64 v[30:31], v[130:131], s[52:53], v[236:237]
	s_delay_alu instid0(VALU_DEP_4) | instskip(SKIP_2) | instid1(VALU_DEP_4)
	v_add_f64_e32 v[166:167], v[166:167], v[26:27]
	v_fma_f64 v[26:27], v[130:131], s[30:31], v[236:237]
	v_mul_f64_e32 v[236:237], s[28:29], v[138:139]
	v_add_f64_e32 v[30:31], v[30:31], v[28:29]
	v_add_f64_e32 v[28:29], v[34:35], v[32:33]
	v_fma_f64 v[32:33], v[84:85], s[52:53], v[44:45]
	v_add_f64_e32 v[26:27], v[26:27], v[24:25]
	v_fma_f64 v[24:25], v[136:137], s[36:37], v[238:239]
	v_mul_f64_e32 v[238:239], s[20:21], v[148:149]
	v_fma_f64 v[44:45], v[84:85], s[30:31], v[44:45]
	v_add_f64_e32 v[32:33], v[32:33], v[46:47]
	v_mul_f64_e32 v[46:47], s[30:31], v[90:91]
	v_add_f64_e32 v[24:25], v[24:25], v[166:167]
	v_mul_f64_e32 v[166:167], s[22:23], v[144:145]
	;; [unrolled: 2-line block ×3, first 2 shown]
	v_add_f64_e32 v[32:33], v[40:41], v[32:33]
	v_fma_f64 v[34:35], v[86:87], s[36:37], v[46:47]
	v_fma_f64 v[40:41], v[96:97], s[42:43], v[52:53]
	v_fma_f64 v[46:47], v[86:87], s[36:37], -v[46:47]
	v_add_f64_e32 v[44:45], v[50:51], v[44:45]
	v_fma_f64 v[50:51], v[96:97], s[42:43], -v[52:53]
	v_fma_f64 v[52:53], v[136:137], s[20:21], -v[240:241]
	v_add_f64_e64 v[72:73], v[72:73], -v[146:147]
	v_mul_f64_e32 v[146:147], s[10:11], v[132:133]
	v_add_f64_e32 v[34:35], v[34:35], v[66:67]
	v_mul_f64_e32 v[66:67], s[0:1], v[120:121]
	v_add_f64_e32 v[46:47], v[46:47], v[56:57]
	v_mul_f64_e32 v[56:57], s[22:23], v[94:95]
	s_delay_alu instid0(VALU_DEP_4) | instskip(SKIP_1) | instid1(VALU_DEP_4)
	v_add_f64_e32 v[34:35], v[40:41], v[34:35]
	v_fma_f64 v[40:41], v[98:99], s[26:27], v[54:55]
	v_add_f64_e32 v[46:47], v[50:51], v[46:47]
	v_fma_f64 v[50:51], v[98:99], s[50:51], v[54:55]
	v_mul_f64_e32 v[54:55], s[36:37], v[102:103]
	v_add_f64_e32 v[56:57], v[152:153], v[56:57]
	v_mul_f64_e32 v[152:153], s[50:51], v[138:139]
	v_add_f64_e32 v[32:33], v[40:41], v[32:33]
	v_fma_f64 v[40:41], v[108:109], s[34:35], v[62:63]
	v_add_f64_e32 v[44:45], v[50:51], v[44:45]
	v_fma_f64 v[50:51], v[108:109], s[34:35], -v[62:63]
	v_add_f64_e32 v[54:55], v[162:163], v[54:55]
	v_add_f64_e32 v[48:49], v[56:57], v[48:49]
	;; [unrolled: 1-line block ×3, first 2 shown]
	v_mul_f64_e32 v[62:63], s[20:21], v[112:113]
	v_mul_f64_e32 v[72:73], s[34:35], v[116:117]
	;; [unrolled: 1-line block ×3, first 2 shown]
	v_add_f64_e32 v[34:35], v[40:41], v[34:35]
	v_fma_f64 v[40:41], v[110:111], s[12:13], v[64:65]
	v_add_f64_e32 v[46:47], v[50:51], v[46:47]
	v_fma_f64 v[50:51], v[110:111], s[0:1], v[64:65]
	v_mul_f64_e32 v[64:65], s[42:43], v[108:109]
	v_add_f64_e32 v[48:49], v[54:55], v[48:49]
	v_add_f64_e64 v[62:63], v[62:63], -v[178:179]
	v_add_f64_e64 v[72:73], v[72:73], -v[186:187]
	v_add_f64_e32 v[32:33], v[40:41], v[32:33]
	v_fma_f64 v[40:41], v[112:113], s[6:7], v[66:67]
	v_add_f64_e32 v[44:45], v[50:51], v[44:45]
	v_fma_f64 v[50:51], v[112:113], s[6:7], -v[66:67]
	v_mul_f64_e32 v[66:67], s[36:37], v[96:97]
	v_add_f64_e64 v[64:65], v[64:65], -v[168:169]
	v_add_f64_e32 v[34:35], v[40:41], v[34:35]
	v_fma_f64 v[40:41], v[114:115], s[40:41], v[160:161]
	v_add_f64_e32 v[46:47], v[50:51], v[46:47]
	v_fma_f64 v[50:51], v[114:115], s[14:15], v[160:161]
	v_add_f64_e64 v[66:67], v[66:67], -v[158:159]
	v_mul_f64_e32 v[158:159], s[28:29], v[142:143]
	v_mul_f64_e32 v[142:143], s[10:11], v[142:143]
	v_add_f64_e32 v[32:33], v[40:41], v[32:33]
	v_fma_f64 v[40:41], v[116:117], s[2:3], v[164:165]
	v_add_f64_e32 v[44:45], v[50:51], v[44:45]
	v_fma_f64 v[50:51], v[116:117], s[2:3], -v[164:165]
	v_add_f64_e32 v[54:55], v[66:67], v[56:57]
	v_mul_f64_e32 v[56:57], s[18:19], v[144:145]
	v_mul_f64_e32 v[66:67], s[14:15], v[90:91]
	v_add_f64_e32 v[34:35], v[40:41], v[34:35]
	v_fma_f64 v[40:41], v[118:119], s[24:25], v[166:167]
	v_add_f64_e32 v[46:47], v[50:51], v[46:47]
	v_fma_f64 v[50:51], v[118:119], s[28:29], v[166:167]
	v_add_f64_e32 v[56:57], v[196:197], v[56:57]
	s_delay_alu instid0(VALU_DEP_4) | instskip(SKIP_1) | instid1(VALU_DEP_4)
	v_add_f64_e32 v[32:33], v[40:41], v[32:33]
	v_fma_f64 v[40:41], v[128:129], s[22:23], v[236:237]
	v_add_f64_e32 v[44:45], v[50:51], v[44:45]
	v_fma_f64 v[50:51], v[128:129], s[22:23], -v[236:237]
	s_delay_alu instid0(VALU_DEP_3) | instskip(SKIP_1) | instid1(VALU_DEP_3)
	v_add_f64_e32 v[40:41], v[40:41], v[34:35]
	v_fma_f64 v[34:35], v[130:131], s[16:17], v[238:239]
	v_add_f64_e32 v[50:51], v[50:51], v[46:47]
	v_fma_f64 v[46:47], v[130:131], s[38:39], v[238:239]
	s_delay_alu instid0(VALU_DEP_3) | instskip(SKIP_1) | instid1(VALU_DEP_3)
	v_add_f64_e32 v[34:35], v[34:35], v[32:33]
	v_fma_f64 v[32:33], v[136:137], s[20:21], v[240:241]
	v_add_f64_e32 v[46:47], v[46:47], v[44:45]
	v_add_f64_e32 v[44:45], v[52:53], v[50:51]
	v_mul_f64_e32 v[52:53], s[42:43], v[124:125]
	v_mul_f64_e32 v[50:51], s[20:21], v[134:135]
	v_add_f64_e32 v[32:33], v[32:33], v[40:41]
	v_mul_f64_e32 v[40:41], s[34:35], v[134:135]
	s_delay_alu instid0(VALU_DEP_4) | instskip(NEXT) | instid1(VALU_DEP_4)
	v_add_f64_e32 v[52:53], v[172:173], v[52:53]
	v_add_f64_e32 v[50:51], v[184:185], v[50:51]
	s_delay_alu instid0(VALU_DEP_3) | instskip(NEXT) | instid1(VALU_DEP_3)
	v_add_f64_e32 v[40:41], v[204:205], v[40:41]
	v_add_f64_e32 v[48:49], v[52:53], v[48:49]
	;; [unrolled: 1-line block ×3, first 2 shown]
	v_mul_f64_e32 v[54:55], s[18:19], v[128:129]
	v_mul_f64_e32 v[64:65], s[2:3], v[94:95]
	v_add_f64_e32 v[36:37], v[40:41], v[36:37]
	v_mul_f64_e32 v[40:41], s[42:43], v[148:149]
	v_add_f64_e32 v[48:49], v[50:51], v[48:49]
	v_add_f64_e32 v[50:51], v[62:63], v[52:53]
	v_mul_f64_e32 v[52:53], s[2:3], v[148:149]
	v_add_f64_e64 v[54:55], v[54:55], -v[192:193]
	v_mul_f64_e32 v[62:63], s[2:3], v[136:137]
	v_add_f64_e32 v[36:37], v[200:201], v[36:37]
	v_add_f64_e32 v[40:41], v[232:233], v[40:41]
	v_add_f64_e32 v[50:51], v[72:73], v[50:51]
	v_add_f64_e32 v[52:53], v[206:207], v[52:53]
	v_mul_f64_e32 v[72:73], s[20:21], v[102:103]
	v_add_f64_e64 v[62:63], v[62:63], -v[202:203]
	v_add_f64_e32 v[36:37], v[106:107], v[36:37]
	v_mul_f64_e32 v[106:107], s[18:19], v[94:95]
	v_add_f64_e32 v[54:55], v[54:55], v[50:51]
	s_delay_alu instid0(VALU_DEP_3) | instskip(NEXT) | instid1(VALU_DEP_3)
	v_add_f64_e32 v[38:39], v[40:41], v[36:37]
	v_add_f64_e32 v[106:107], v[174:175], v[106:107]
	v_mul_f64_e32 v[174:175], s[22:23], v[96:97]
	v_add_f64_e32 v[36:37], v[104:105], v[42:43]
	v_mul_f64_e32 v[104:105], s[22:23], v[102:103]
	v_mul_f64_e32 v[42:43], s[36:37], v[124:125]
	;; [unrolled: 1-line block ×3, first 2 shown]
	v_add_f64_e32 v[81:82], v[106:107], v[81:82]
	v_add_f64_e64 v[174:175], v[174:175], -v[176:177]
	v_mul_f64_e32 v[176:177], s[18:19], v[86:87]
	v_add_f64_e32 v[104:105], v[180:181], v[104:105]
	v_add_f64_e32 v[42:43], v[198:199], v[42:43]
	;; [unrolled: 1-line block ×3, first 2 shown]
	s_delay_alu instid0(VALU_DEP_4) | instskip(NEXT) | instid1(VALU_DEP_4)
	v_add_f64_e64 v[170:171], v[176:177], -v[170:171]
	v_add_f64_e32 v[81:82], v[104:105], v[81:82]
	v_mul_f64_e32 v[176:177], s[42:43], v[140:141]
	s_delay_alu instid0(VALU_DEP_3) | instskip(NEXT) | instid1(VALU_DEP_3)
	v_add_f64_e32 v[106:107], v[170:171], v[150:151]
	v_add_f64_e32 v[42:43], v[42:43], v[81:82]
	s_delay_alu instid0(VALU_DEP_3) | instskip(SKIP_1) | instid1(VALU_DEP_4)
	v_add_f64_e32 v[176:177], v[220:221], v[176:177]
	v_mul_f64_e32 v[150:151], s[42:43], v[116:117]
	v_add_f64_e32 v[104:105], v[174:175], v[106:107]
	v_mul_f64_e32 v[106:107], s[6:7], v[144:145]
	v_add_f64_e32 v[40:41], v[40:41], v[42:43]
	s_delay_alu instid0(VALU_DEP_4) | instskip(NEXT) | instid1(VALU_DEP_4)
	v_add_f64_e64 v[150:151], v[150:151], -v[216:217]
	v_add_f64_e32 v[81:82], v[126:127], v[104:105]
	s_delay_alu instid0(VALU_DEP_4)
	v_add_f64_e32 v[106:107], v[226:227], v[106:107]
	v_mul_f64_e32 v[104:105], s[6:7], v[128:129]
	v_add_f64_e32 v[40:41], v[176:177], v[40:41]
	v_mul_f64_e32 v[126:127], s[18:19], v[140:141]
	;; [unrolled: 2-line block ×3, first 2 shown]
	v_add_f64_e64 v[104:105], v[104:105], -v[224:225]
	v_add_f64_e32 v[40:41], v[106:107], v[40:41]
	v_mul_f64_e32 v[122:123], s[34:35], v[136:137]
	v_mul_f64_e32 v[106:107], s[36:37], v[134:135]
	v_add_f64_e32 v[42:43], v[150:151], v[42:43]
	v_add_f64_e32 v[81:82], v[234:235], v[81:82]
	v_mul_f64_e32 v[150:151], s[34:35], v[144:145]
	v_add_f64_e64 v[122:123], v[122:123], -v[230:231]
	s_delay_alu instid0(VALU_DEP_4) | instskip(NEXT) | instid1(VALU_DEP_4)
	v_add_f64_e32 v[104:105], v[104:105], v[42:43]
	v_add_f64_e32 v[42:43], v[81:82], v[40:41]
	v_mul_f64_e32 v[81:82], s[34:35], v[140:141]
	s_delay_alu instid0(VALU_DEP_3) | instskip(SKIP_1) | instid1(VALU_DEP_3)
	v_add_f64_e32 v[40:41], v[122:123], v[104:105]
	v_mul_f64_e32 v[104:105], s[12:13], v[100:101]
	v_add_f64_e32 v[81:82], v[190:191], v[81:82]
	v_mul_f64_e32 v[122:123], s[52:53], v[120:121]
	s_delay_alu instid0(VALU_DEP_2) | instskip(SKIP_1) | instid1(VALU_DEP_2)
	v_add_f64_e32 v[48:49], v[81:82], v[48:49]
	v_mul_f64_e32 v[81:82], s[6:7], v[124:125]
	v_add_f64_e32 v[48:49], v[56:57], v[48:49]
	v_fma_f64 v[56:57], v[88:89], s[16:17], v[72:73]
	s_delay_alu instid0(VALU_DEP_2)
	v_add_f64_e32 v[50:51], v[52:53], v[48:49]
	v_fma_f64 v[52:53], v[84:85], s[14:15], v[64:65]
	v_add_f64_e32 v[48:49], v[62:63], v[54:55]
	v_fma_f64 v[54:55], v[86:87], s[2:3], -v[66:67]
	v_mul_f64_e32 v[62:63], s[34:35], v[94:95]
	v_fma_f64 v[64:65], v[84:85], s[40:41], v[64:65]
	v_fma_f64 v[66:67], v[86:87], s[2:3], v[66:67]
	v_add_f64_e32 v[52:53], v[52:53], v[156:157]
	v_mul_f64_e32 v[156:157], s[22:23], v[148:149]
	v_add_f64_e32 v[54:55], v[54:55], v[58:59]
	v_add_f64_e32 v[64:65], v[64:65], v[154:155]
	;; [unrolled: 1-line block ×3, first 2 shown]
	v_fma_f64 v[68:69], v[98:99], s[0:1], v[81:82]
	v_add_f64_e32 v[52:53], v[56:57], v[52:53]
	v_fma_f64 v[56:57], v[96:97], s[20:21], -v[78:79]
	s_delay_alu instid0(VALU_DEP_1) | instskip(SKIP_1) | instid1(VALU_DEP_1)
	v_add_f64_e32 v[54:55], v[56:57], v[54:55]
	v_fma_f64 v[56:57], v[98:99], s[12:13], v[81:82]
	v_add_f64_e32 v[52:53], v[56:57], v[52:53]
	v_fma_f64 v[56:57], v[108:109], s[6:7], -v[104:105]
	s_delay_alu instid0(VALU_DEP_1) | instskip(SKIP_1) | instid1(VALU_DEP_1)
	v_add_f64_e32 v[54:55], v[56:57], v[54:55]
	;; [unrolled: 5-line block ×5, first 2 shown]
	v_fma_f64 v[54:55], v[130:131], s[28:29], v[156:157]
	v_add_f64_e32 v[54:55], v[54:55], v[52:53]
	v_fma_f64 v[52:53], v[136:137], s[22:23], -v[158:159]
	s_delay_alu instid0(VALU_DEP_1) | instskip(SKIP_2) | instid1(VALU_DEP_2)
	v_add_f64_e32 v[52:53], v[52:53], v[56:57]
	v_fma_f64 v[56:57], v[84:85], s[50:51], v[62:63]
	v_fma_f64 v[62:63], v[84:85], s[26:27], v[62:63]
	v_add_f64_e32 v[56:57], v[56:57], v[74:75]
	v_mul_f64_e32 v[74:75], s[26:27], v[90:91]
	s_delay_alu instid0(VALU_DEP_3) | instskip(NEXT) | instid1(VALU_DEP_2)
	v_add_f64_e32 v[62:63], v[62:63], v[76:77]
	v_fma_f64 v[58:59], v[86:87], s[34:35], v[74:75]
	v_fma_f64 v[74:75], v[86:87], s[34:35], -v[74:75]
	s_delay_alu instid0(VALU_DEP_2) | instskip(SKIP_1) | instid1(VALU_DEP_3)
	v_add_f64_e32 v[58:59], v[58:59], v[70:71]
	v_mul_f64_e32 v[70:71], s[2:3], v[102:103]
	v_add_f64_e32 v[60:61], v[74:75], v[60:61]
	v_fma_f64 v[74:75], v[136:137], s[18:19], -v[142:143]
	s_delay_alu instid0(VALU_DEP_3) | instskip(SKIP_1) | instid1(VALU_DEP_2)
	v_fma_f64 v[90:91], v[88:89], s[14:15], v[70:71]
	v_fma_f64 v[70:71], v[88:89], s[40:41], v[70:71]
	v_add_f64_e32 v[56:57], v[90:91], v[56:57]
	v_mul_f64_e32 v[90:91], s[40:41], v[92:93]
	s_delay_alu instid0(VALU_DEP_3) | instskip(NEXT) | instid1(VALU_DEP_2)
	v_add_f64_e32 v[62:63], v[70:71], v[62:63]
	v_fma_f64 v[92:93], v[96:97], s[2:3], v[90:91]
	v_fma_f64 v[70:71], v[96:97], s[2:3], -v[90:91]
	s_delay_alu instid0(VALU_DEP_2) | instskip(SKIP_1) | instid1(VALU_DEP_3)
	v_add_f64_e32 v[58:59], v[92:93], v[58:59]
	v_mul_f64_e32 v[92:93], s[20:21], v[124:125]
	v_add_f64_e32 v[60:61], v[70:71], v[60:61]
	s_delay_alu instid0(VALU_DEP_2) | instskip(SKIP_1) | instid1(VALU_DEP_2)
	v_fma_f64 v[94:95], v[98:99], s[38:39], v[92:93]
	v_fma_f64 v[70:71], v[98:99], s[16:17], v[92:93]
	v_add_f64_e32 v[56:57], v[94:95], v[56:57]
	v_mul_f64_e32 v[94:95], s[16:17], v[100:101]
	s_delay_alu instid0(VALU_DEP_3) | instskip(NEXT) | instid1(VALU_DEP_2)
	v_add_f64_e32 v[62:63], v[70:71], v[62:63]
	v_fma_f64 v[100:101], v[108:109], s[20:21], v[94:95]
	v_fma_f64 v[70:71], v[108:109], s[20:21], -v[94:95]
	s_delay_alu instid0(VALU_DEP_2) | instskip(SKIP_1) | instid1(VALU_DEP_3)
	v_add_f64_e32 v[58:59], v[100:101], v[58:59]
	v_mul_f64_e32 v[100:101], s[22:23], v[134:135]
	v_add_f64_e32 v[60:61], v[70:71], v[60:61]
	s_delay_alu instid0(VALU_DEP_2) | instskip(SKIP_1) | instid1(VALU_DEP_2)
	v_fma_f64 v[102:103], v[110:111], s[24:25], v[100:101]
	v_fma_f64 v[70:71], v[110:111], s[28:29], v[100:101]
	v_add_f64_e32 v[56:57], v[102:103], v[56:57]
	v_mul_f64_e32 v[102:103], s[28:29], v[120:121]
	s_delay_alu instid0(VALU_DEP_3) | instskip(NEXT) | instid1(VALU_DEP_2)
	v_add_f64_e32 v[62:63], v[70:71], v[62:63]
	v_fma_f64 v[120:121], v[112:113], s[22:23], v[102:103]
	v_fma_f64 v[70:71], v[112:113], s[22:23], -v[102:103]
	s_delay_alu instid0(VALU_DEP_2) | instskip(SKIP_1) | instid1(VALU_DEP_3)
	v_add_f64_e32 v[58:59], v[120:121], v[58:59]
	v_mul_f64_e32 v[120:121], s[6:7], v[140:141]
	v_add_f64_e32 v[60:61], v[70:71], v[60:61]
	v_mul_f64_e32 v[140:141], s[18:19], v[148:149]
	s_delay_alu instid0(VALU_DEP_3) | instskip(SKIP_1) | instid1(VALU_DEP_2)
	v_fma_f64 v[124:125], v[114:115], s[12:13], v[120:121]
	v_fma_f64 v[70:71], v[114:115], s[0:1], v[120:121]
	v_add_f64_e32 v[56:57], v[124:125], v[56:57]
	v_mul_f64_e32 v[124:125], s[0:1], v[132:133]
	s_delay_alu instid0(VALU_DEP_3) | instskip(NEXT) | instid1(VALU_DEP_2)
	v_add_f64_e32 v[62:63], v[70:71], v[62:63]
	v_fma_f64 v[132:133], v[116:117], s[6:7], v[124:125]
	v_fma_f64 v[70:71], v[116:117], s[6:7], -v[124:125]
	s_delay_alu instid0(VALU_DEP_2) | instskip(SKIP_1) | instid1(VALU_DEP_3)
	v_add_f64_e32 v[58:59], v[132:133], v[58:59]
	v_mul_f64_e32 v[132:133], s[42:43], v[144:145]
	v_add_f64_e32 v[60:61], v[70:71], v[60:61]
	s_delay_alu instid0(VALU_DEP_2) | instskip(SKIP_1) | instid1(VALU_DEP_2)
	v_fma_f64 v[134:135], v[118:119], s[44:45], v[132:133]
	v_fma_f64 v[70:71], v[118:119], s[46:47], v[132:133]
	v_add_f64_e32 v[56:57], v[134:135], v[56:57]
	v_mul_f64_e32 v[134:135], s[46:47], v[138:139]
	s_delay_alu instid0(VALU_DEP_3) | instskip(NEXT) | instid1(VALU_DEP_2)
	v_add_f64_e32 v[62:63], v[70:71], v[62:63]
	v_fma_f64 v[70:71], v[128:129], s[42:43], -v[134:135]
	v_fma_f64 v[138:139], v[128:129], s[42:43], v[134:135]
	s_delay_alu instid0(VALU_DEP_2) | instskip(SKIP_1) | instid1(VALU_DEP_3)
	v_add_f64_e32 v[60:61], v[70:71], v[60:61]
	v_fma_f64 v[70:71], v[130:131], s[10:11], v[140:141]
	v_add_f64_e32 v[138:139], v[138:139], v[58:59]
	v_fma_f64 v[58:59], v[130:131], s[48:49], v[140:141]
	s_delay_alu instid0(VALU_DEP_4) | instskip(NEXT) | instid1(VALU_DEP_4)
	v_add_f64_e32 v[60:61], v[74:75], v[60:61]
	v_add_f64_e32 v[62:63], v[70:71], v[62:63]
	v_fma_f64 v[70:71], v[88:89], s[38:39], v[72:73]
	v_fma_f64 v[72:73], v[96:97], s[20:21], v[78:79]
	v_add_f64_e32 v[58:59], v[58:59], v[56:57]
	v_fma_f64 v[56:57], v[136:137], s[18:19], v[142:143]
	s_delay_alu instid0(VALU_DEP_4)
	v_add_f64_e32 v[64:65], v[70:71], v[64:65]
	v_fma_f64 v[70:71], v[108:109], s[6:7], v[104:105]
	v_add_f64_e32 v[66:67], v[72:73], v[66:67]
	v_fma_f64 v[72:73], v[110:111], s[30:31], v[106:107]
	v_add_f64_e32 v[56:57], v[56:57], v[138:139]
	v_add_f64_e32 v[64:65], v[68:69], v[64:65]
	v_fma_f64 v[68:69], v[112:113], s[36:37], v[122:123]
	v_add_f64_e32 v[66:67], v[70:71], v[66:67]
	v_fma_f64 v[70:71], v[114:115], s[48:49], v[126:127]
	s_delay_alu instid0(VALU_DEP_4) | instskip(SKIP_1) | instid1(VALU_DEP_4)
	v_add_f64_e32 v[64:65], v[72:73], v[64:65]
	v_fma_f64 v[72:73], v[116:117], s[18:19], v[146:147]
	v_add_f64_e32 v[66:67], v[68:69], v[66:67]
	v_fma_f64 v[68:69], v[118:119], s[26:27], v[150:151]
	s_delay_alu instid0(VALU_DEP_4) | instskip(SKIP_1) | instid1(VALU_DEP_4)
	;; [unrolled: 5-line block ×3, first 2 shown]
	v_add_f64_e32 v[64:65], v[68:69], v[64:65]
	v_fma_f64 v[68:69], v[136:137], s[22:23], v[158:159]
	v_add_f64_e32 v[70:71], v[70:71], v[66:67]
	s_delay_alu instid0(VALU_DEP_3) | instskip(NEXT) | instid1(VALU_DEP_2)
	v_add_f64_e32 v[66:67], v[72:73], v[64:65]
	v_add_f64_e32 v[64:65], v[68:69], v[70:71]
	v_lshl_add_u32 v68, v80, 8, v244
	ds_store_b128 v68, v[36:39] offset:32
	ds_store_b128 v68, v[40:43] offset:48
	;; [unrolled: 1-line block ×15, first 2 shown]
	ds_store_b128 v68, v[12:15]
	ds_store_b128 v68, v[64:67] offset:256
.LBB0_13:
	s_or_b32 exec_lo, exec_lo, s33
	v_and_b32_e32 v12, 0xff, v80
	global_wb scope:SCOPE_SE
	s_wait_dscnt 0x0
	s_barrier_signal -1
	s_barrier_wait -1
	global_inv scope:SCOPE_SE
	v_mul_lo_u16 v12, 0xf1, v12
	s_mov_b32 s20, 0x24c2f84
	s_mov_b32 s21, 0xbfe5384d
	;; [unrolled: 1-line block ×4, first 2 shown]
	v_lshrrev_b16 v81, 12, v12
	s_mov_b32 s16, 0x2ef20147
	s_mov_b32 s2, 0xd0032e0c
	;; [unrolled: 1-line block ×4, first 2 shown]
	v_mul_lo_u16 v12, v81, 17
	s_mov_b32 s18, 0x4267c47c
	s_mov_b32 s23, 0xbfea55e2
	s_mov_b32 s25, 0xbfefc445
	s_mov_b32 s17, 0xbfedeba7
	v_sub_nc_u16 v12, v80, v12
	s_mov_b32 s3, 0xbfe7f3cc
	s_mov_b32 s27, 0xbfcea1e5
	;; [unrolled: 1-line block ×4, first 2 shown]
	v_and_b32_e32 v98, 0xff, v12
	s_mov_b32 s12, 0xebaa3ed8
	s_mov_b32 s6, 0xb2365da1
	;; [unrolled: 1-line block ×4, first 2 shown]
	v_mul_u32_u24_e32 v12, 12, v98
	s_mov_b32 s11, 0x3fe22d96
	s_mov_b32 s13, 0x3fbedb7d
	;; [unrolled: 1-line block ×4, first 2 shown]
	v_lshlrev_b32_e32 v62, 4, v12
	s_mov_b32 s31, 0x3fe5384d
	s_wait_alu 0xfffe
	s_mov_b32 s30, s20
	s_mov_b32 s29, 0x3fefc445
	;; [unrolled: 1-line block ×3, first 2 shown]
	s_clause 0x3
	global_load_b128 v[12:15], v62, s[4:5]
	global_load_b128 v[24:27], v62, s[4:5] offset:176
	global_load_b128 v[16:19], v62, s[4:5] offset:16
	;; [unrolled: 1-line block ×3, first 2 shown]
	ds_load_b128 v[28:31], v244 offset:2176
	ds_load_b128 v[88:91], v244
	ds_load_b128 v[34:37], v244 offset:26112
	s_mov_b32 s35, 0x3fedeba7
	s_mov_b32 s34, s16
	s_wait_loadcnt_dscnt 0x302
	v_mul_f64_e32 v[32:33], v[30:31], v[14:15]
	v_mul_f64_e32 v[14:15], v[28:29], v[14:15]
	s_wait_loadcnt_dscnt 0x200
	v_mul_f64_e32 v[38:39], v[34:35], v[26:27]
	v_mul_f64_e32 v[40:41], v[36:37], v[26:27]
	s_delay_alu instid0(VALU_DEP_4) | instskip(NEXT) | instid1(VALU_DEP_4)
	v_fma_f64 v[76:77], v[28:29], v[12:13], -v[32:33]
	v_fma_f64 v[30:31], v[30:31], v[12:13], v[14:15]
	ds_load_b128 v[12:15], v244 offset:4352
	ds_load_b128 v[26:29], v244 offset:6528
	;; [unrolled: 1-line block ×3, first 2 shown]
	v_fma_f64 v[34:35], v[34:35], v[24:25], -v[40:41]
	v_fma_f64 v[32:33], v[36:37], v[24:25], v[38:39]
	s_wait_loadcnt_dscnt 0x102
	v_mul_f64_e32 v[42:43], v[14:15], v[18:19]
	v_mul_f64_e32 v[18:19], v[12:13], v[18:19]
	s_delay_alu instid0(VALU_DEP_3) | instskip(NEXT) | instid1(VALU_DEP_3)
	v_add_f64_e32 v[103:104], v[30:31], v[32:33]
	v_fma_f64 v[40:41], v[12:13], v[16:17], -v[42:43]
	s_delay_alu instid0(VALU_DEP_3) | instskip(SKIP_4) | instid1(VALU_DEP_2)
	v_fma_f64 v[42:43], v[14:15], v[16:17], v[18:19]
	ds_load_b128 v[12:15], v244 offset:21760
	s_wait_loadcnt_dscnt 0x1
	v_mul_f64_e32 v[16:17], v[44:45], v[22:23]
	v_mul_f64_e32 v[18:19], v[46:47], v[22:23]
	v_fma_f64 v[36:37], v[46:47], v[20:21], v[16:17]
	s_delay_alu instid0(VALU_DEP_2)
	v_fma_f64 v[38:39], v[44:45], v[20:21], -v[18:19]
	s_clause 0x1
	global_load_b128 v[16:19], v62, s[4:5] offset:32
	global_load_b128 v[20:23], v62, s[4:5] offset:48
	v_add_f64_e64 v[129:130], v[42:43], -v[36:37]
	v_add_f64_e64 v[131:132], v[40:41], -v[38:39]
	s_delay_alu instid0(VALU_DEP_2) | instskip(SKIP_1) | instid1(VALU_DEP_3)
	v_mul_f64_e32 v[179:180], s[16:17], v[129:130]
	v_mul_f64_e32 v[197:198], s[26:27], v[129:130]
	;; [unrolled: 1-line block ×3, first 2 shown]
	s_wait_alu 0xfffe
	v_mul_f64_e32 v[217:218], s[30:31], v[131:132]
	v_mul_f64_e32 v[235:236], s[28:29], v[131:132]
	s_wait_loadcnt 0x1
	v_mul_f64_e32 v[24:25], v[28:29], v[18:19]
	v_mul_f64_e32 v[18:19], v[26:27], v[18:19]
	s_delay_alu instid0(VALU_DEP_2) | instskip(NEXT) | instid1(VALU_DEP_2)
	v_fma_f64 v[48:49], v[26:27], v[16:17], -v[24:25]
	v_fma_f64 v[50:51], v[28:29], v[16:17], v[18:19]
	s_clause 0x1
	global_load_b128 v[16:19], v62, s[4:5] offset:144
	global_load_b128 v[24:27], v62, s[4:5] offset:128
	s_wait_loadcnt_dscnt 0x100
	v_mul_f64_e32 v[28:29], v[14:15], v[18:19]
	s_delay_alu instid0(VALU_DEP_1) | instskip(SKIP_1) | instid1(VALU_DEP_2)
	v_fma_f64 v[44:45], v[12:13], v[16:17], -v[28:29]
	v_mul_f64_e32 v[12:13], v[12:13], v[18:19]
	v_add_f64_e64 v[137:138], v[48:49], -v[44:45]
	s_delay_alu instid0(VALU_DEP_2)
	v_fma_f64 v[46:47], v[14:15], v[16:17], v[12:13]
	ds_load_b128 v[12:15], v244 offset:8704
	ds_load_b128 v[16:19], v244 offset:10880
	s_wait_dscnt 0x1
	v_mul_f64_e32 v[28:29], v[14:15], v[22:23]
	v_mul_f64_e32 v[141:142], s[24:25], v[137:138]
	v_add_f64_e64 v[133:134], v[50:51], -v[46:47]
	v_add_f64_e32 v[139:140], v[50:51], v[46:47]
	v_mul_f64_e32 v[183:184], s[26:27], v[137:138]
	v_mul_f64_e32 v[203:204], s[34:35], v[137:138]
	;; [unrolled: 1-line block ×3, first 2 shown]
	v_fma_f64 v[56:57], v[12:13], v[20:21], -v[28:29]
	v_mul_f64_e32 v[12:13], v[12:13], v[22:23]
	v_mul_f64_e32 v[135:136], s[24:25], v[133:134]
	;; [unrolled: 1-line block ×5, first 2 shown]
	v_fma_f64 v[58:59], v[14:15], v[20:21], v[12:13]
	ds_load_b128 v[12:15], v244 offset:19584
	ds_load_b128 v[20:23], v244 offset:17408
	s_wait_loadcnt_dscnt 0x1
	v_mul_f64_e32 v[28:29], v[14:15], v[26:27]
	s_delay_alu instid0(VALU_DEP_1) | instskip(SKIP_1) | instid1(VALU_DEP_2)
	v_fma_f64 v[52:53], v[12:13], v[24:25], -v[28:29]
	v_mul_f64_e32 v[12:13], v[12:13], v[26:27]
	v_add_f64_e32 v[145:146], v[56:57], v[52:53]
	s_delay_alu instid0(VALU_DEP_2)
	v_fma_f64 v[54:55], v[14:15], v[24:25], v[12:13]
	s_clause 0x1
	global_load_b128 v[12:15], v62, s[4:5] offset:64
	global_load_b128 v[24:27], v62, s[4:5] offset:80
	v_add_f64_e64 v[149:150], v[56:57], -v[52:53]
	v_add_f64_e64 v[143:144], v[58:59], -v[54:55]
	v_add_f64_e32 v[151:152], v[58:59], v[54:55]
	s_delay_alu instid0(VALU_DEP_3)
	v_mul_f64_e32 v[153:154], s[16:17], v[149:150]
	v_mul_f64_e32 v[187:188], s[30:31], v[149:150]
	;; [unrolled: 1-line block ×6, first 2 shown]
	s_wait_loadcnt 0x1
	v_mul_f64_e32 v[28:29], v[18:19], v[14:15]
	v_mul_f64_e32 v[14:15], v[16:17], v[14:15]
	s_delay_alu instid0(VALU_DEP_2) | instskip(NEXT) | instid1(VALU_DEP_2)
	v_fma_f64 v[60:61], v[16:17], v[12:13], -v[28:29]
	v_fma_f64 v[64:65], v[18:19], v[12:13], v[14:15]
	s_clause 0x1
	global_load_b128 v[12:15], v62, s[4:5] offset:112
	global_load_b128 v[16:19], v62, s[4:5] offset:96
	s_wait_loadcnt_dscnt 0x100
	v_mul_f64_e32 v[28:29], v[22:23], v[14:15]
	v_mul_f64_e32 v[14:15], v[20:21], v[14:15]
	s_delay_alu instid0(VALU_DEP_2) | instskip(NEXT) | instid1(VALU_DEP_2)
	v_fma_f64 v[62:63], v[20:21], v[12:13], -v[28:29]
	v_fma_f64 v[66:67], v[22:23], v[12:13], v[14:15]
	ds_load_b128 v[12:15], v244 offset:13056
	ds_load_b128 v[20:23], v244 offset:15232
	global_wb scope:SCOPE_SE
	s_wait_loadcnt_dscnt 0x0
	s_barrier_signal -1
	s_barrier_wait -1
	global_inv scope:SCOPE_SE
	v_mul_f64_e32 v[28:29], v[14:15], v[26:27]
	v_add_f64_e32 v[157:158], v[60:61], v[62:63]
	v_add_f64_e64 v[155:156], v[64:65], -v[66:67]
	v_add_f64_e64 v[161:162], v[60:61], -v[62:63]
	v_add_f64_e32 v[163:164], v[64:65], v[66:67]
	v_fma_f64 v[68:69], v[12:13], v[24:25], -v[28:29]
	v_mul_f64_e32 v[12:13], v[12:13], v[26:27]
	v_mul_f64_e32 v[159:160], s[20:21], v[155:156]
	;; [unrolled: 1-line block ×7, first 2 shown]
	v_fma_f64 v[70:71], v[14:15], v[24:25], v[12:13]
	v_mul_f64_e32 v[12:13], v[22:23], v[18:19]
	v_add_f64_e32 v[24:25], v[76:77], v[34:35]
	s_delay_alu instid0(VALU_DEP_2) | instskip(SKIP_1) | instid1(VALU_DEP_2)
	v_fma_f64 v[72:73], v[20:21], v[16:17], -v[12:13]
	v_mul_f64_e32 v[12:13], v[20:21], v[18:19]
	v_add_f64_e32 v[169:170], v[68:69], v[72:73]
	s_delay_alu instid0(VALU_DEP_2) | instskip(SKIP_2) | instid1(VALU_DEP_3)
	v_fma_f64 v[74:75], v[22:23], v[16:17], v[12:13]
	v_add_f64_e64 v[12:13], v[30:31], -v[32:33]
	v_add_f64_e64 v[173:174], v[68:69], -v[72:73]
	;; [unrolled: 1-line block ×3, first 2 shown]
	s_delay_alu instid0(VALU_DEP_3)
	v_mul_f64_e32 v[22:23], s[20:21], v[12:13]
	v_mul_f64_e32 v[14:15], s[18:19], v[12:13]
	;; [unrolled: 1-line block ×6, first 2 shown]
	v_add_f64_e32 v[175:176], v[70:71], v[74:75]
	v_mul_f64_e32 v[177:178], s[26:27], v[173:174]
	v_mul_f64_e32 v[215:216], s[20:21], v[173:174]
	v_mul_f64_e32 v[171:172], s[26:27], v[167:168]
	v_fma_f64 v[94:95], v[24:25], s[2:3], -v[22:23]
	v_fma_f64 v[96:97], v[24:25], s[2:3], v[22:23]
	v_add_f64_e64 v[22:23], v[76:77], -v[34:35]
	v_fma_f64 v[26:27], v[24:25], s[14:15], -v[14:15]
	v_fma_f64 v[14:15], v[24:25], s[14:15], v[14:15]
	v_fma_f64 v[28:29], v[24:25], s[10:11], -v[16:17]
	v_fma_f64 v[16:17], v[24:25], s[10:11], v[16:17]
	;; [unrolled: 2-line block ×5, first 2 shown]
	v_add_f64_e32 v[76:77], v[88:89], v[76:77]
	v_mul_f64_e32 v[213:214], s[20:21], v[167:168]
	v_mul_f64_e32 v[251:252], s[16:17], v[167:168]
	v_add_f64_e32 v[125:126], v[88:89], v[96:97]
	v_mul_f64_e32 v[24:25], s[18:19], v[22:23]
	v_mul_f64_e32 v[78:79], s[22:23], v[22:23]
	v_mul_f64_e32 v[84:85], s[24:25], v[22:23]
	v_mul_f64_e32 v[86:87], s[16:17], v[22:23]
	v_mul_f64_e32 v[101:102], s[20:21], v[22:23]
	v_mul_f64_e32 v[22:23], s[26:27], v[22:23]
	v_add_f64_e32 v[14:15], v[88:89], v[14:15]
	v_add_f64_e32 v[123:124], v[88:89], v[28:29]
	;; [unrolled: 1-line block ×3, first 2 shown]
	s_mov_b32 s19, 0x3fddbe06
	s_mov_b32 s27, 0x3fcea1e5
	s_wait_alu 0xfffe
	v_mul_f64_e32 v[193:194], s[18:19], v[167:168]
	v_mul_f64_e32 v[195:196], s[18:19], v[173:174]
	;; [unrolled: 1-line block ×8, first 2 shown]
	s_mov_b32 s25, 0x3fea55e2
	s_mov_b32 s24, s22
	v_mul_f64_e32 v[241:242], s[26:27], v[143:144]
	s_wait_alu 0xfffe
	v_mul_f64_e32 v[231:232], s[24:25], v[167:168]
	v_mul_f64_e32 v[233:234], s[24:25], v[173:174]
	;; [unrolled: 1-line block ×12, first 2 shown]
	v_fma_f64 v[105:106], v[103:104], s[14:15], v[24:25]
	v_fma_f64 v[24:25], v[103:104], s[14:15], -v[24:25]
	v_fma_f64 v[107:108], v[103:104], s[10:11], v[78:79]
	v_fma_f64 v[109:110], v[103:104], s[10:11], -v[78:79]
	;; [unrolled: 2-line block ×6, first 2 shown]
	v_add_f64_e32 v[78:79], v[90:91], v[30:31]
	v_add_f64_e32 v[84:85], v[88:89], v[26:27]
	;; [unrolled: 1-line block ×24, first 2 shown]
	v_mul_f64_e32 v[90:91], s[22:23], v[129:130]
	v_mul_f64_e32 v[94:95], s[22:23], v[131:132]
	v_fma_f64 v[99:100], v[96:97], s[12:13], v[135:136]
	v_fma_f64 v[103:104], v[96:97], s[0:1], -v[181:182]
	v_add_f64_e32 v[40:41], v[76:77], v[40:41]
	v_add_f64_e32 v[42:43], v[78:79], v[42:43]
	v_fma_f64 v[12:13], v[88:89], s[10:11], v[90:91]
	s_delay_alu instid0(VALU_DEP_3) | instskip(NEXT) | instid1(VALU_DEP_3)
	v_add_f64_e32 v[40:41], v[40:41], v[48:49]
	v_add_f64_e32 v[42:43], v[42:43], v[50:51]
	s_delay_alu instid0(VALU_DEP_3) | instskip(SKIP_1) | instid1(VALU_DEP_4)
	v_add_f64_e32 v[12:13], v[12:13], v[14:15]
	v_fma_f64 v[14:15], v[92:93], s[10:11], -v[94:95]
	v_add_f64_e32 v[40:41], v[40:41], v[56:57]
	s_delay_alu instid0(VALU_DEP_4) | instskip(NEXT) | instid1(VALU_DEP_4)
	v_add_f64_e32 v[42:43], v[42:43], v[58:59]
	v_add_f64_e32 v[12:13], v[99:100], v[12:13]
	s_delay_alu instid0(VALU_DEP_4) | instskip(SKIP_3) | instid1(VALU_DEP_3)
	v_add_f64_e32 v[14:15], v[14:15], v[105:106]
	v_fma_f64 v[99:100], v[139:140], s[12:13], -v[141:142]
	v_add_f64_e32 v[40:41], v[40:41], v[60:61]
	v_add_f64_e32 v[42:43], v[42:43], v[64:65]
	;; [unrolled: 1-line block ×3, first 2 shown]
	v_fma_f64 v[99:100], v[145:146], s[6:7], v[147:148]
	s_delay_alu instid0(VALU_DEP_4) | instskip(NEXT) | instid1(VALU_DEP_4)
	v_add_f64_e32 v[40:41], v[40:41], v[68:69]
	v_add_f64_e32 v[42:43], v[42:43], v[70:71]
	s_delay_alu instid0(VALU_DEP_3) | instskip(SKIP_1) | instid1(VALU_DEP_4)
	v_add_f64_e32 v[12:13], v[99:100], v[12:13]
	v_fma_f64 v[99:100], v[151:152], s[6:7], -v[153:154]
	v_add_f64_e32 v[40:41], v[40:41], v[72:73]
	s_delay_alu instid0(VALU_DEP_4) | instskip(NEXT) | instid1(VALU_DEP_3)
	v_add_f64_e32 v[42:43], v[42:43], v[74:75]
	v_add_f64_e32 v[14:15], v[99:100], v[14:15]
	v_fma_f64 v[99:100], v[157:158], s[2:3], v[159:160]
	s_delay_alu instid0(VALU_DEP_4) | instskip(NEXT) | instid1(VALU_DEP_4)
	v_add_f64_e32 v[40:41], v[40:41], v[62:63]
	v_add_f64_e32 v[42:43], v[42:43], v[66:67]
	s_delay_alu instid0(VALU_DEP_3) | instskip(SKIP_1) | instid1(VALU_DEP_4)
	v_add_f64_e32 v[12:13], v[99:100], v[12:13]
	v_fma_f64 v[99:100], v[163:164], s[2:3], -v[165:166]
	v_add_f64_e32 v[40:41], v[40:41], v[52:53]
	s_delay_alu instid0(VALU_DEP_4) | instskip(NEXT) | instid1(VALU_DEP_3)
	v_add_f64_e32 v[42:43], v[42:43], v[54:55]
	v_add_f64_e32 v[14:15], v[99:100], v[14:15]
	v_fma_f64 v[99:100], v[169:170], s[0:1], v[171:172]
	s_delay_alu instid0(VALU_DEP_4) | instskip(NEXT) | instid1(VALU_DEP_4)
	v_add_f64_e32 v[40:41], v[40:41], v[44:45]
	v_add_f64_e32 v[42:43], v[42:43], v[46:47]
	s_delay_alu instid0(VALU_DEP_3) | instskip(SKIP_1) | instid1(VALU_DEP_4)
	v_add_f64_e32 v[12:13], v[99:100], v[12:13]
	v_fma_f64 v[99:100], v[175:176], s[0:1], -v[177:178]
	v_add_f64_e32 v[38:39], v[40:41], v[38:39]
	s_delay_alu instid0(VALU_DEP_4) | instskip(NEXT) | instid1(VALU_DEP_3)
	v_add_f64_e32 v[36:37], v[42:43], v[36:37]
	v_add_f64_e32 v[14:15], v[99:100], v[14:15]
	v_fma_f64 v[99:100], v[88:89], s[6:7], -v[179:180]
	s_delay_alu instid0(VALU_DEP_4) | instskip(NEXT) | instid1(VALU_DEP_4)
	v_add_f64_e32 v[34:35], v[38:39], v[34:35]
	v_add_f64_e32 v[36:37], v[36:37], v[32:33]
	v_and_b32_e32 v32, 0xffff, v81
	v_lshlrev_b32_e32 v33, 4, v98
	s_delay_alu instid0(VALU_DEP_2) | instskip(NEXT) | instid1(VALU_DEP_1)
	v_mul_u32_u24_e32 v32, 0xdd0, v32
	v_add3_u32 v32, 0, v32, v33
	v_add_f64_e32 v[99:100], v[99:100], v[123:124]
	v_mul_f64_e32 v[123:124], s[16:17], v[131:132]
	v_mul_f64_e32 v[131:132], s[18:19], v[131:132]
	s_delay_alu instid0(VALU_DEP_3) | instskip(NEXT) | instid1(VALU_DEP_3)
	v_add_f64_e32 v[99:100], v[103:104], v[99:100]
	v_fma_f64 v[101:102], v[92:93], s[6:7], v[123:124]
	v_fma_f64 v[103:104], v[139:140], s[0:1], v[183:184]
	s_delay_alu instid0(VALU_DEP_2) | instskip(SKIP_1) | instid1(VALU_DEP_2)
	v_add_f64_e32 v[101:102], v[101:102], v[107:108]
	v_fma_f64 v[107:108], v[96:97], s[14:15], -v[219:220]
	v_add_f64_e32 v[101:102], v[103:104], v[101:102]
	v_fma_f64 v[103:104], v[145:146], s[2:3], -v[185:186]
	s_delay_alu instid0(VALU_DEP_1) | instskip(SKIP_1) | instid1(VALU_DEP_1)
	v_add_f64_e32 v[99:100], v[103:104], v[99:100]
	v_fma_f64 v[103:104], v[151:152], s[2:3], v[187:188]
	v_add_f64_e32 v[101:102], v[103:104], v[101:102]
	v_fma_f64 v[103:104], v[157:158], s[12:13], -v[189:190]
	s_delay_alu instid0(VALU_DEP_1) | instskip(SKIP_1) | instid1(VALU_DEP_1)
	v_add_f64_e32 v[99:100], v[103:104], v[99:100]
	v_fma_f64 v[103:104], v[163:164], s[12:13], v[191:192]
	;; [unrolled: 5-line block ×8, first 2 shown]
	v_add_f64_e32 v[105:106], v[16:17], v[82:83]
	v_mul_f64_e32 v[82:83], s[30:31], v[129:130]
	s_delay_alu instid0(VALU_DEP_1) | instskip(SKIP_1) | instid1(VALU_DEP_2)
	v_fma_f64 v[16:17], v[88:89], s[2:3], -v[82:83]
	v_fma_f64 v[82:83], v[88:89], s[2:3], v[82:83]
	v_add_f64_e32 v[16:17], v[16:17], v[18:19]
	v_fma_f64 v[18:19], v[92:93], s[2:3], v[217:218]
	s_delay_alu instid0(VALU_DEP_3) | instskip(SKIP_1) | instid1(VALU_DEP_4)
	v_add_f64_e32 v[22:23], v[82:83], v[22:23]
	v_fma_f64 v[82:83], v[92:93], s[2:3], -v[217:218]
	v_add_f64_e32 v[16:17], v[107:108], v[16:17]
	s_delay_alu instid0(VALU_DEP_4) | instskip(SKIP_1) | instid1(VALU_DEP_4)
	v_add_f64_e32 v[18:19], v[18:19], v[109:110]
	v_fma_f64 v[107:108], v[139:140], s[14:15], v[221:222]
	v_add_f64_e32 v[20:21], v[82:83], v[20:21]
	v_fma_f64 v[82:83], v[96:97], s[14:15], v[219:220]
	s_delay_alu instid0(VALU_DEP_3) | instskip(SKIP_1) | instid1(VALU_DEP_3)
	v_add_f64_e32 v[18:19], v[107:108], v[18:19]
	v_fma_f64 v[107:108], v[145:146], s[12:13], -v[223:224]
	v_add_f64_e32 v[22:23], v[82:83], v[22:23]
	v_fma_f64 v[82:83], v[139:140], s[14:15], -v[221:222]
	s_delay_alu instid0(VALU_DEP_3) | instskip(SKIP_1) | instid1(VALU_DEP_3)
	v_add_f64_e32 v[16:17], v[107:108], v[16:17]
	v_fma_f64 v[107:108], v[151:152], s[12:13], v[225:226]
	v_add_f64_e32 v[20:21], v[82:83], v[20:21]
	v_fma_f64 v[82:83], v[145:146], s[12:13], v[223:224]
	s_delay_alu instid0(VALU_DEP_3) | instskip(SKIP_1) | instid1(VALU_DEP_3)
	v_add_f64_e32 v[18:19], v[107:108], v[18:19]
	v_fma_f64 v[107:108], v[157:158], s[0:1], -v[227:228]
	v_add_f64_e32 v[22:23], v[82:83], v[22:23]
	v_fma_f64 v[82:83], v[151:152], s[12:13], -v[225:226]
	s_delay_alu instid0(VALU_DEP_3) | instskip(SKIP_1) | instid1(VALU_DEP_3)
	;; [unrolled: 10-line block ×3, first 2 shown]
	v_add_f64_e32 v[107:108], v[107:108], v[16:17]
	v_fma_f64 v[16:17], v[175:176], s[10:11], v[233:234]
	v_add_f64_e32 v[82:83], v[82:83], v[20:21]
	v_fma_f64 v[20:21], v[169:170], s[10:11], v[231:232]
	s_delay_alu instid0(VALU_DEP_3) | instskip(SKIP_1) | instid1(VALU_DEP_3)
	v_add_f64_e32 v[109:110], v[16:17], v[18:19]
	v_mul_f64_e32 v[16:17], s[28:29], v[129:130]
	v_add_f64_e32 v[20:21], v[20:21], v[22:23]
	v_mul_f64_e32 v[129:130], s[18:19], v[129:130]
	ds_store_b128 v32, v[99:102] offset:544
	ds_store_b128 v32, v[103:106] offset:816
	ds_store_b128 v32, v[107:110] offset:1088
	v_fma_f64 v[18:19], v[88:89], s[12:13], -v[16:17]
	v_fma_f64 v[16:17], v[88:89], s[12:13], v[16:17]
	s_delay_alu instid0(VALU_DEP_2) | instskip(SKIP_1) | instid1(VALU_DEP_3)
	v_add_f64_e32 v[18:19], v[18:19], v[111:112]
	v_fma_f64 v[111:112], v[92:93], s[12:13], v[235:236]
	v_add_f64_e32 v[16:17], v[16:17], v[125:126]
	v_fma_f64 v[125:126], v[92:93], s[12:13], -v[235:236]
	s_delay_alu instid0(VALU_DEP_3) | instskip(SKIP_1) | instid1(VALU_DEP_3)
	v_add_f64_e32 v[111:112], v[111:112], v[113:114]
	v_fma_f64 v[113:114], v[96:97], s[10:11], -v[237:238]
	v_add_f64_e32 v[125:126], v[125:126], v[127:128]
	v_fma_f64 v[127:128], v[96:97], s[10:11], v[237:238]
	s_delay_alu instid0(VALU_DEP_3) | instskip(SKIP_1) | instid1(VALU_DEP_3)
	v_add_f64_e32 v[18:19], v[113:114], v[18:19]
	v_fma_f64 v[113:114], v[139:140], s[10:11], v[239:240]
	v_add_f64_e32 v[16:17], v[127:128], v[16:17]
	v_fma_f64 v[127:128], v[139:140], s[10:11], -v[239:240]
	s_delay_alu instid0(VALU_DEP_3) | instskip(SKIP_1) | instid1(VALU_DEP_3)
	v_add_f64_e32 v[111:112], v[113:114], v[111:112]
	v_fma_f64 v[113:114], v[145:146], s[0:1], -v[241:242]
	v_add_f64_e32 v[125:126], v[127:128], v[125:126]
	v_fma_f64 v[127:128], v[145:146], s[0:1], v[241:242]
	s_delay_alu instid0(VALU_DEP_3) | instskip(SKIP_1) | instid1(VALU_DEP_3)
	;; [unrolled: 10-line block ×3, first 2 shown]
	v_add_f64_e32 v[18:19], v[113:114], v[18:19]
	v_fma_f64 v[113:114], v[163:164], s[14:15], v[249:250]
	v_add_f64_e32 v[16:17], v[127:128], v[16:17]
	v_fma_f64 v[127:128], v[163:164], s[14:15], -v[249:250]
	s_delay_alu instid0(VALU_DEP_3) | instskip(SKIP_1) | instid1(VALU_DEP_3)
	v_add_f64_e32 v[113:114], v[113:114], v[111:112]
	v_fma_f64 v[111:112], v[169:170], s[6:7], -v[251:252]
	v_add_f64_e32 v[125:126], v[127:128], v[125:126]
	v_fma_f64 v[127:128], v[169:170], s[6:7], v[251:252]
	s_delay_alu instid0(VALU_DEP_3) | instskip(SKIP_2) | instid1(VALU_DEP_4)
	v_add_f64_e32 v[111:112], v[111:112], v[18:19]
	v_mul_f64_e32 v[18:19], s[16:17], v[173:174]
	v_mul_f64_e32 v[173:174], s[28:29], v[173:174]
	v_add_f64_e32 v[16:17], v[127:128], v[16:17]
	s_delay_alu instid0(VALU_DEP_3) | instskip(SKIP_1) | instid1(VALU_DEP_2)
	v_fma_f64 v[253:254], v[175:176], s[6:7], v[18:19]
	v_fma_f64 v[18:19], v[175:176], s[6:7], -v[18:19]
	v_add_f64_e32 v[113:114], v[253:254], v[113:114]
	s_delay_alu instid0(VALU_DEP_2) | instskip(SKIP_3) | instid1(VALU_DEP_3)
	v_add_f64_e32 v[18:19], v[18:19], v[125:126]
	v_fma_f64 v[125:126], v[175:176], s[10:11], -v[233:234]
	v_fma_f64 v[253:254], v[88:89], s[14:15], -v[129:130]
	v_fma_f64 v[129:130], v[88:89], s[14:15], v[129:130]
	v_add_f64_e32 v[22:23], v[125:126], v[82:83]
	v_fma_f64 v[82:83], v[88:89], s[0:1], v[197:198]
	v_fma_f64 v[125:126], v[175:176], s[2:3], -v[215:216]
	v_add_f64_e32 v[115:116], v[253:254], v[115:116]
	v_fma_f64 v[253:254], v[92:93], s[14:15], v[131:132]
	v_add_f64_e32 v[119:120], v[129:130], v[119:120]
	v_fma_f64 v[129:130], v[92:93], s[14:15], -v[131:132]
	v_fma_f64 v[131:132], v[175:176], s[12:13], -v[173:174]
	v_add_f64_e32 v[26:27], v[82:83], v[26:27]
	v_fma_f64 v[82:83], v[92:93], s[0:1], -v[199:200]
	v_add_f64_e32 v[117:118], v[253:254], v[117:118]
	v_fma_f64 v[253:254], v[96:97], s[2:3], -v[133:134]
	v_add_f64_e32 v[121:122], v[129:130], v[121:122]
	v_fma_f64 v[129:130], v[96:97], s[2:3], v[133:134]
	v_add_f64_e32 v[24:25], v[82:83], v[24:25]
	v_fma_f64 v[82:83], v[96:97], s[6:7], v[201:202]
	v_add_f64_e32 v[115:116], v[253:254], v[115:116]
	v_fma_f64 v[253:254], v[139:140], s[2:3], v[137:138]
	v_add_f64_e32 v[119:120], v[129:130], v[119:120]
	v_fma_f64 v[129:130], v[139:140], s[2:3], -v[137:138]
	v_add_f64_e32 v[26:27], v[82:83], v[26:27]
	v_fma_f64 v[82:83], v[139:140], s[6:7], -v[203:204]
	v_add_f64_e32 v[117:118], v[253:254], v[117:118]
	v_fma_f64 v[253:254], v[145:146], s[10:11], -v[143:144]
	v_add_f64_e32 v[121:122], v[129:130], v[121:122]
	v_fma_f64 v[129:130], v[145:146], s[10:11], v[143:144]
	v_add_f64_e32 v[24:25], v[82:83], v[24:25]
	v_fma_f64 v[82:83], v[145:146], s[14:15], v[205:206]
	v_add_f64_e32 v[115:116], v[253:254], v[115:116]
	v_fma_f64 v[253:254], v[151:152], s[10:11], v[149:150]
	v_add_f64_e32 v[119:120], v[129:130], v[119:120]
	;; [unrolled: 12-line block ×4, first 2 shown]
	v_add_f64_e32 v[121:122], v[131:132], v[121:122]
	v_add_f64_e32 v[24:25], v[24:25], v[26:27]
	;; [unrolled: 1-line block ×3, first 2 shown]
	v_fma_f64 v[82:83], v[88:89], s[6:7], v[179:180]
	v_add_f64_e32 v[117:118], v[253:254], v[117:118]
	s_delay_alu instid0(VALU_DEP_2) | instskip(SKIP_2) | instid1(VALU_DEP_2)
	v_add_f64_e32 v[30:31], v[82:83], v[30:31]
	v_fma_f64 v[82:83], v[92:93], s[6:7], -v[123:124]
	v_fma_f64 v[123:124], v[175:176], s[14:15], -v[195:196]
	v_add_f64_e32 v[28:29], v[82:83], v[28:29]
	v_fma_f64 v[82:83], v[96:97], s[0:1], v[181:182]
	s_delay_alu instid0(VALU_DEP_1) | instskip(SKIP_1) | instid1(VALU_DEP_1)
	v_add_f64_e32 v[30:31], v[82:83], v[30:31]
	v_fma_f64 v[82:83], v[139:140], s[0:1], -v[183:184]
	v_add_f64_e32 v[28:29], v[82:83], v[28:29]
	v_fma_f64 v[82:83], v[145:146], s[2:3], v[185:186]
	s_delay_alu instid0(VALU_DEP_1) | instskip(SKIP_1) | instid1(VALU_DEP_1)
	v_add_f64_e32 v[30:31], v[82:83], v[30:31]
	;; [unrolled: 5-line block ×3, first 2 shown]
	v_fma_f64 v[82:83], v[163:164], s[12:13], -v[191:192]
	v_add_f64_e32 v[82:83], v[82:83], v[28:29]
	v_fma_f64 v[28:29], v[169:170], s[14:15], v[193:194]
	s_delay_alu instid0(VALU_DEP_1) | instskip(NEXT) | instid1(VALU_DEP_3)
	v_add_f64_e32 v[28:29], v[28:29], v[30:31]
	v_add_f64_e32 v[30:31], v[123:124], v[82:83]
	v_fma_f64 v[82:83], v[88:89], s[10:11], -v[90:91]
	v_fma_f64 v[88:89], v[92:93], s[10:11], v[94:95]
	v_fma_f64 v[90:91], v[96:97], s[12:13], -v[135:136]
	v_fma_f64 v[92:93], v[139:140], s[12:13], v[141:142]
	s_delay_alu instid0(VALU_DEP_4) | instskip(NEXT) | instid1(VALU_DEP_4)
	v_add_f64_e32 v[82:83], v[82:83], v[84:85]
	v_add_f64_e32 v[84:85], v[88:89], v[86:87]
	v_fma_f64 v[86:87], v[145:146], s[6:7], -v[147:148]
	v_fma_f64 v[88:89], v[151:152], s[6:7], v[153:154]
	s_delay_alu instid0(VALU_DEP_4) | instskip(NEXT) | instid1(VALU_DEP_4)
	v_add_f64_e32 v[82:83], v[90:91], v[82:83]
	v_add_f64_e32 v[84:85], v[92:93], v[84:85]
	;; [unrolled: 5-line block ×3, first 2 shown]
	v_fma_f64 v[86:87], v[169:170], s[0:1], -v[171:172]
	v_fma_f64 v[88:89], v[175:176], s[0:1], v[177:178]
	v_cmp_gt_u32_e64 s0, 0x55, v80
	v_add_f64_e32 v[82:83], v[90:91], v[82:83]
	v_add_f64_e32 v[90:91], v[92:93], v[84:85]
	s_delay_alu instid0(VALU_DEP_2) | instskip(NEXT) | instid1(VALU_DEP_2)
	v_add_f64_e32 v[84:85], v[86:87], v[82:83]
	v_add_f64_e32 v[86:87], v[88:89], v[90:91]
	ds_store_b128 v32, v[111:114] offset:1360
	ds_store_b128 v32, v[115:118] offset:1632
	;; [unrolled: 1-line block ×9, first 2 shown]
	ds_store_b128 v32, v[34:37]
	global_wb scope:SCOPE_SE
	s_wait_dscnt 0x0
	s_barrier_signal -1
	s_barrier_wait -1
	global_inv scope:SCOPE_SE
	ds_load_b128 v[32:35], v244
	ds_load_b128 v[60:63], v244 offset:3536
	ds_load_b128 v[48:51], v244 offset:7072
	;; [unrolled: 1-line block ×7, first 2 shown]
	s_and_saveexec_b32 s1, s0
	s_cbranch_execz .LBB0_15
; %bb.14:
	ds_load_b128 v[16:19], v244 offset:2176
	ds_load_b128 v[20:23], v244 offset:5712
	;; [unrolled: 1-line block ×8, first 2 shown]
.LBB0_15:
	s_wait_alu 0xfffe
	s_or_b32 exec_lo, exec_lo, s1
	v_mul_u32_u24_e32 v64, 7, v80
	s_mov_b32 s2, 0x667f3bcd
	s_mov_b32 s3, 0xbfe6a09e
	;; [unrolled: 1-line block ×3, first 2 shown]
	s_wait_alu 0xfffe
	s_mov_b32 s6, s2
	v_lshlrev_b32_e32 v81, 4, v64
	s_clause 0x6
	global_load_b128 v[64:67], v81, s[4:5] offset:3264
	global_load_b128 v[68:71], v81, s[4:5] offset:3280
	;; [unrolled: 1-line block ×7, first 2 shown]
	global_wb scope:SCOPE_SE
	s_wait_loadcnt_dscnt 0x0
	s_barrier_signal -1
	s_barrier_wait -1
	global_inv scope:SCOPE_SE
	v_mul_f64_e32 v[81:82], v[62:63], v[66:67]
	v_mul_f64_e32 v[66:67], v[60:61], v[66:67]
	;; [unrolled: 1-line block ×14, first 2 shown]
	v_fma_f64 v[60:61], v[60:61], v[64:65], -v[81:82]
	v_fma_f64 v[62:63], v[62:63], v[64:65], v[66:67]
	v_fma_f64 v[48:49], v[48:49], v[68:69], -v[96:97]
	v_fma_f64 v[50:51], v[50:51], v[68:69], v[70:71]
	;; [unrolled: 2-line block ×7, first 2 shown]
	v_add_f64_e64 v[52:53], v[32:33], -v[52:53]
	v_add_f64_e64 v[54:55], v[34:35], -v[54:55]
	;; [unrolled: 1-line block ×8, first 2 shown]
	v_fma_f64 v[32:33], v[32:33], 2.0, -v[52:53]
	v_fma_f64 v[34:35], v[34:35], 2.0, -v[54:55]
	;; [unrolled: 1-line block ×6, first 2 shown]
	v_add_f64_e64 v[58:59], v[52:53], -v[58:59]
	v_add_f64_e32 v[56:57], v[54:55], v[56:57]
	v_fma_f64 v[36:37], v[36:37], 2.0, -v[40:41]
	v_fma_f64 v[38:39], v[38:39], 2.0, -v[42:43]
	v_add_f64_e64 v[42:43], v[44:45], -v[42:43]
	v_add_f64_e32 v[40:41], v[46:47], v[40:41]
	v_add_f64_e64 v[48:49], v[32:33], -v[48:49]
	v_add_f64_e64 v[50:51], v[34:35], -v[50:51]
	v_fma_f64 v[64:65], v[52:53], 2.0, -v[58:59]
	v_fma_f64 v[66:67], v[54:55], 2.0, -v[56:57]
	v_add_f64_e64 v[36:37], v[60:61], -v[36:37]
	v_add_f64_e64 v[38:39], v[62:63], -v[38:39]
	v_fma_f64 v[52:53], v[44:45], 2.0, -v[42:43]
	v_fma_f64 v[44:45], v[46:47], 2.0, -v[40:41]
	s_wait_alu 0xfffe
	v_fma_f64 v[46:47], v[42:43], s[6:7], v[58:59]
	v_fma_f64 v[54:55], v[40:41], s[6:7], v[56:57]
	v_fma_f64 v[68:69], v[32:33], 2.0, -v[48:49]
	v_fma_f64 v[70:71], v[34:35], 2.0, -v[50:51]
	;; [unrolled: 1-line block ×4, first 2 shown]
	v_fma_f64 v[72:73], v[52:53], s[2:3], v[64:65]
	v_fma_f64 v[74:75], v[44:45], s[2:3], v[66:67]
	v_add_f64_e64 v[32:33], v[48:49], -v[38:39]
	v_add_f64_e32 v[34:35], v[50:51], v[36:37]
	v_fma_f64 v[36:37], v[40:41], s[2:3], v[46:47]
	v_fma_f64 v[38:39], v[42:43], s[6:7], v[54:55]
	v_add_f64_e64 v[40:41], v[68:69], -v[60:61]
	v_add_f64_e64 v[42:43], v[70:71], -v[62:63]
	v_fma_f64 v[44:45], v[44:45], s[2:3], v[72:73]
	v_fma_f64 v[46:47], v[52:53], s[6:7], v[74:75]
	v_fma_f64 v[48:49], v[48:49], 2.0, -v[32:33]
	v_fma_f64 v[50:51], v[50:51], 2.0, -v[34:35]
	;; [unrolled: 1-line block ×8, first 2 shown]
	ds_store_b128 v244, v[48:51] offset:7072
	ds_store_b128 v244, v[52:55] offset:10608
	;; [unrolled: 1-line block ×4, first 2 shown]
	ds_store_b128 v244, v[56:59]
	ds_store_b128 v244, v[60:63] offset:3536
	ds_store_b128 v244, v[32:35] offset:21216
	;; [unrolled: 1-line block ×3, first 2 shown]
	s_and_saveexec_b32 s1, s0
	s_cbranch_execz .LBB0_17
; %bb.16:
	v_add_nc_u32_e32 v32, 0x88, v80
	v_add_nc_u32_e32 v33, 0xffffffab, v80
	s_delay_alu instid0(VALU_DEP_1) | instskip(SKIP_1) | instid1(VALU_DEP_2)
	v_cndmask_b32_e64 v32, v33, v32, s0
	v_mov_b32_e32 v33, 0
	v_mul_i32_i24_e32 v32, 7, v32
	s_delay_alu instid0(VALU_DEP_1) | instskip(NEXT) | instid1(VALU_DEP_1)
	v_lshlrev_b64_e32 v[32:33], 4, v[32:33]
	v_add_co_u32 v56, s0, s4, v32
	s_wait_alu 0xf1ff
	s_delay_alu instid0(VALU_DEP_2)
	v_add_co_ci_u32_e64 v57, s0, s5, v33, s0
	s_clause 0x6
	global_load_b128 v[32:35], v[56:57], off offset:3280
	global_load_b128 v[36:39], v[56:57], off offset:3344
	;; [unrolled: 1-line block ×7, first 2 shown]
	s_wait_loadcnt 0x6
	v_mul_f64_e32 v[60:61], v[26:27], v[34:35]
	s_wait_loadcnt 0x5
	v_mul_f64_e32 v[62:63], v[10:11], v[38:39]
	;; [unrolled: 2-line block ×4, first 2 shown]
	v_mul_f64_e32 v[46:47], v[20:21], v[46:47]
	s_wait_loadcnt 0x2
	v_mul_f64_e32 v[68:69], v[4:5], v[50:51]
	s_wait_loadcnt 0x1
	;; [unrolled: 2-line block ×3, first 2 shown]
	v_mul_f64_e32 v[72:73], v[2:3], v[58:59]
	v_mul_f64_e32 v[34:35], v[24:25], v[34:35]
	;; [unrolled: 1-line block ×7, first 2 shown]
	v_fma_f64 v[24:25], v[24:25], v[32:33], -v[60:61]
	v_fma_f64 v[8:9], v[8:9], v[36:37], -v[62:63]
	v_fma_f64 v[14:15], v[14:15], v[40:41], v[64:65]
	v_fma_f64 v[20:21], v[20:21], v[44:45], -v[66:67]
	v_fma_f64 v[22:23], v[22:23], v[44:45], v[46:47]
	v_fma_f64 v[6:7], v[6:7], v[48:49], v[68:69]
	v_fma_f64 v[28:29], v[28:29], v[52:53], -v[70:71]
	v_fma_f64 v[0:1], v[0:1], v[56:57], -v[72:73]
	v_fma_f64 v[26:27], v[26:27], v[32:33], v[34:35]
	v_fma_f64 v[10:11], v[10:11], v[36:37], v[38:39]
	v_fma_f64 v[4:5], v[4:5], v[48:49], -v[50:51]
	v_fma_f64 v[12:13], v[12:13], v[40:41], -v[42:43]
	v_fma_f64 v[30:31], v[30:31], v[52:53], v[54:55]
	v_fma_f64 v[2:3], v[2:3], v[56:57], v[58:59]
	v_add_f64_e64 v[8:9], v[24:25], -v[8:9]
	v_add_f64_e64 v[14:15], v[18:19], -v[14:15]
	;; [unrolled: 1-line block ×8, first 2 shown]
	v_add_f64_e32 v[32:33], v[14:15], v[8:9]
	v_fma_f64 v[18:19], v[18:19], 2.0, -v[14:15]
	v_fma_f64 v[8:9], v[24:25], 2.0, -v[8:9]
	;; [unrolled: 1-line block ×3, first 2 shown]
	v_add_f64_e32 v[34:35], v[6:7], v[0:1]
	v_fma_f64 v[0:1], v[28:29], 2.0, -v[0:1]
	v_fma_f64 v[26:27], v[26:27], 2.0, -v[10:11]
	;; [unrolled: 1-line block ×4, first 2 shown]
	v_add_f64_e64 v[24:25], v[12:13], -v[10:11]
	v_fma_f64 v[28:29], v[30:31], 2.0, -v[2:3]
	v_add_f64_e64 v[2:3], v[4:5], -v[2:3]
	v_fma_f64 v[30:31], v[14:15], 2.0, -v[32:33]
	v_fma_f64 v[36:37], v[6:7], 2.0, -v[34:35]
	v_add_f64_e64 v[26:27], v[18:19], -v[26:27]
	v_add_f64_e64 v[0:1], v[20:21], -v[0:1]
	v_fma_f64 v[38:39], v[12:13], 2.0, -v[24:25]
	v_add_f64_e64 v[10:11], v[22:23], -v[28:29]
	v_add_f64_e64 v[28:29], v[16:17], -v[8:9]
	v_fma_f64 v[8:9], v[4:5], 2.0, -v[2:3]
	v_fma_f64 v[4:5], v[34:35], s[6:7], v[32:33]
	v_fma_f64 v[12:13], v[2:3], s[6:7], v[24:25]
	;; [unrolled: 1-line block ×3, first 2 shown]
	v_fma_f64 v[40:41], v[18:19], 2.0, -v[26:27]
	v_add_f64_e32 v[6:7], v[26:27], v[0:1]
	v_fma_f64 v[18:19], v[22:23], 2.0, -v[10:11]
	v_fma_f64 v[42:43], v[16:17], 2.0, -v[28:29]
	;; [unrolled: 1-line block ×3, first 2 shown]
	v_fma_f64 v[20:21], v[8:9], s[2:3], v[38:39]
	v_fma_f64 v[2:3], v[2:3], s[6:7], v[4:5]
	v_add_f64_e64 v[4:5], v[28:29], -v[10:11]
	v_fma_f64 v[0:1], v[34:35], s[2:3], v[12:13]
	v_fma_f64 v[10:11], v[8:9], s[6:7], v[14:15]
	v_fma_f64 v[22:23], v[26:27], 2.0, -v[6:7]
	v_add_f64_e64 v[14:15], v[40:41], -v[18:19]
	v_add_f64_e64 v[12:13], v[42:43], -v[16:17]
	v_fma_f64 v[8:9], v[36:37], s[2:3], v[20:21]
	v_fma_f64 v[18:19], v[32:33], 2.0, -v[2:3]
	v_fma_f64 v[20:21], v[28:29], 2.0, -v[4:5]
	v_fma_f64 v[16:17], v[24:25], 2.0, -v[0:1]
	v_fma_f64 v[26:27], v[30:31], 2.0, -v[10:11]
	v_fma_f64 v[30:31], v[40:41], 2.0, -v[14:15]
	v_fma_f64 v[28:29], v[42:43], 2.0, -v[12:13]
	v_fma_f64 v[24:25], v[38:39], 2.0, -v[8:9]
	ds_store_b128 v244, v[20:23] offset:9248
	ds_store_b128 v244, v[16:19] offset:12784
	;; [unrolled: 1-line block ×8, first 2 shown]
.LBB0_17:
	s_wait_alu 0xfffe
	s_or_b32 exec_lo, exec_lo, s1
	global_wb scope:SCOPE_SE
	s_wait_dscnt 0x0
	s_barrier_signal -1
	s_barrier_wait -1
	global_inv scope:SCOPE_SE
	ds_load_b128 v[4:7], v244
	v_lshlrev_b32_e32 v0, 4, v80
	s_mov_b32 s1, exec_lo
                                        ; implicit-def: $vgpr2_vgpr3
                                        ; implicit-def: $vgpr8_vgpr9
                                        ; implicit-def: $vgpr10_vgpr11
	s_delay_alu instid0(VALU_DEP_1)
	v_sub_nc_u32_e32 v12, 0, v0
	v_cmpx_ne_u32_e32 0, v80
	s_wait_alu 0xfffe
	s_xor_b32 s1, exec_lo, s1
	s_cbranch_execz .LBB0_19
; %bb.18:
	v_mov_b32_e32 v81, 0
	s_delay_alu instid0(VALU_DEP_1) | instskip(NEXT) | instid1(VALU_DEP_1)
	v_lshlrev_b64_e32 v[0:1], 4, v[80:81]
	v_add_co_u32 v0, s0, s4, v0
	s_wait_alu 0xf1ff
	s_delay_alu instid0(VALU_DEP_2)
	v_add_co_ci_u32_e64 v1, s0, s5, v1, s0
	global_load_b128 v[13:16], v[0:1], off offset:28016
	ds_load_b128 v[0:3], v12 offset:28288
	s_wait_dscnt 0x0
	v_add_f64_e64 v[8:9], v[4:5], -v[0:1]
	v_add_f64_e32 v[10:11], v[6:7], v[2:3]
	v_add_f64_e64 v[2:3], v[6:7], -v[2:3]
	v_add_f64_e32 v[0:1], v[4:5], v[0:1]
	s_delay_alu instid0(VALU_DEP_4) | instskip(NEXT) | instid1(VALU_DEP_4)
	v_mul_f64_e32 v[6:7], 0.5, v[8:9]
	v_mul_f64_e32 v[4:5], 0.5, v[10:11]
	s_delay_alu instid0(VALU_DEP_4) | instskip(SKIP_1) | instid1(VALU_DEP_3)
	v_mul_f64_e32 v[2:3], 0.5, v[2:3]
	s_wait_loadcnt 0x0
	v_mul_f64_e32 v[8:9], v[6:7], v[15:16]
	s_delay_alu instid0(VALU_DEP_2) | instskip(SKIP_1) | instid1(VALU_DEP_3)
	v_fma_f64 v[10:11], v[4:5], v[15:16], v[2:3]
	v_fma_f64 v[2:3], v[4:5], v[15:16], -v[2:3]
	v_fma_f64 v[17:18], v[0:1], 0.5, v[8:9]
	v_fma_f64 v[0:1], v[0:1], 0.5, -v[8:9]
	s_delay_alu instid0(VALU_DEP_4) | instskip(NEXT) | instid1(VALU_DEP_4)
	v_fma_f64 v[8:9], -v[13:14], v[6:7], v[10:11]
	v_fma_f64 v[2:3], -v[13:14], v[6:7], v[2:3]
	v_dual_mov_b32 v10, v80 :: v_dual_mov_b32 v11, v81
	v_fma_f64 v[15:16], v[4:5], v[13:14], v[17:18]
	v_fma_f64 v[0:1], -v[4:5], v[13:14], v[0:1]
                                        ; implicit-def: $vgpr4_vgpr5
	ds_store_b64 v244, v[15:16]
.LBB0_19:
	s_wait_alu 0xfffe
	s_and_not1_saveexec_b32 s0, s1
	s_cbranch_execz .LBB0_21
; %bb.20:
	s_wait_dscnt 0x0
	v_add_f64_e32 v[13:14], v[4:5], v[6:7]
	v_add_f64_e64 v[0:1], v[4:5], -v[6:7]
	v_mov_b32_e32 v6, 0
	v_mov_b32_e32 v8, 0
	v_dual_mov_b32 v9, 0 :: v_dual_mov_b32 v10, 0
	s_delay_alu instid0(VALU_DEP_2)
	v_mov_b32_e32 v2, v8
	ds_load_b64 v[4:5], v6 offset:14152
	v_mov_b32_e32 v11, 0
	v_mov_b32_e32 v3, v9
	s_wait_dscnt 0x0
	v_xor_b32_e32 v5, 0x80000000, v5
	ds_store_b64 v244, v[13:14]
	ds_store_b64 v6, v[4:5] offset:14152
.LBB0_21:
	s_wait_alu 0xfffe
	s_or_b32 exec_lo, exec_lo, s0
	s_wait_dscnt 0x0
	v_lshlrev_b64_e32 v[4:5], 4, v[10:11]
	s_add_nc_u64 s[0:1], s[4:5], 0x6d70
	s_wait_alu 0xfffe
	s_delay_alu instid0(VALU_DEP_1) | instskip(SKIP_1) | instid1(VALU_DEP_2)
	v_add_co_u32 v6, s0, s0, v4
	s_wait_alu 0xf1ff
	v_add_co_ci_u32_e64 v7, s0, s1, v5, s0
	s_mov_b32 s1, exec_lo
	s_clause 0x1
	global_load_b128 v[13:16], v[6:7], off offset:2176
	global_load_b128 v[17:20], v[6:7], off offset:4352
	ds_store_b64 v244, v[8:9] offset:8
	ds_store_b128 v12, v[0:3] offset:28288
	ds_load_b128 v[0:3], v244 offset:2176
	ds_load_b128 v[8:11], v12 offset:26112
	s_wait_dscnt 0x0
	v_add_f64_e64 v[21:22], v[0:1], -v[8:9]
	v_add_f64_e32 v[23:24], v[2:3], v[10:11]
	v_add_f64_e64 v[2:3], v[2:3], -v[10:11]
	v_add_f64_e32 v[0:1], v[0:1], v[8:9]
	s_delay_alu instid0(VALU_DEP_4) | instskip(NEXT) | instid1(VALU_DEP_4)
	v_mul_f64_e32 v[10:11], 0.5, v[21:22]
	v_mul_f64_e32 v[21:22], 0.5, v[23:24]
	s_delay_alu instid0(VALU_DEP_4) | instskip(SKIP_1) | instid1(VALU_DEP_3)
	v_mul_f64_e32 v[2:3], 0.5, v[2:3]
	s_wait_loadcnt 0x1
	v_mul_f64_e32 v[8:9], v[10:11], v[15:16]
	s_delay_alu instid0(VALU_DEP_2) | instskip(SKIP_1) | instid1(VALU_DEP_3)
	v_fma_f64 v[23:24], v[21:22], v[15:16], v[2:3]
	v_fma_f64 v[15:16], v[21:22], v[15:16], -v[2:3]
	v_fma_f64 v[25:26], v[0:1], 0.5, v[8:9]
	v_fma_f64 v[8:9], v[0:1], 0.5, -v[8:9]
	s_delay_alu instid0(VALU_DEP_4) | instskip(NEXT) | instid1(VALU_DEP_4)
	v_fma_f64 v[2:3], -v[13:14], v[10:11], v[23:24]
	v_fma_f64 v[10:11], -v[13:14], v[10:11], v[15:16]
	s_delay_alu instid0(VALU_DEP_4) | instskip(NEXT) | instid1(VALU_DEP_4)
	v_fma_f64 v[0:1], v[21:22], v[13:14], v[25:26]
	v_fma_f64 v[8:9], -v[21:22], v[13:14], v[8:9]
	global_load_b128 v[13:16], v[6:7], off offset:6528
	ds_store_b128 v244, v[0:3] offset:2176
	ds_store_b128 v12, v[8:11] offset:26112
	ds_load_b128 v[0:3], v244 offset:4352
	ds_load_b128 v[8:11], v12 offset:23936
	s_wait_dscnt 0x0
	v_add_f64_e64 v[21:22], v[0:1], -v[8:9]
	v_add_f64_e32 v[23:24], v[2:3], v[10:11]
	v_add_f64_e64 v[2:3], v[2:3], -v[10:11]
	v_add_f64_e32 v[0:1], v[0:1], v[8:9]
	s_delay_alu instid0(VALU_DEP_4) | instskip(NEXT) | instid1(VALU_DEP_4)
	v_mul_f64_e32 v[10:11], 0.5, v[21:22]
	v_mul_f64_e32 v[21:22], 0.5, v[23:24]
	s_delay_alu instid0(VALU_DEP_4) | instskip(SKIP_1) | instid1(VALU_DEP_3)
	v_mul_f64_e32 v[2:3], 0.5, v[2:3]
	s_wait_loadcnt 0x1
	v_mul_f64_e32 v[8:9], v[10:11], v[19:20]
	s_delay_alu instid0(VALU_DEP_2) | instskip(SKIP_1) | instid1(VALU_DEP_3)
	v_fma_f64 v[23:24], v[21:22], v[19:20], v[2:3]
	v_fma_f64 v[19:20], v[21:22], v[19:20], -v[2:3]
	v_fma_f64 v[25:26], v[0:1], 0.5, v[8:9]
	v_fma_f64 v[8:9], v[0:1], 0.5, -v[8:9]
	s_delay_alu instid0(VALU_DEP_4) | instskip(NEXT) | instid1(VALU_DEP_4)
	v_fma_f64 v[2:3], -v[17:18], v[10:11], v[23:24]
	v_fma_f64 v[10:11], -v[17:18], v[10:11], v[19:20]
	s_delay_alu instid0(VALU_DEP_4) | instskip(NEXT) | instid1(VALU_DEP_4)
	v_fma_f64 v[0:1], v[21:22], v[17:18], v[25:26]
	v_fma_f64 v[8:9], -v[21:22], v[17:18], v[8:9]
	global_load_b128 v[17:20], v[6:7], off offset:8704
	ds_store_b128 v244, v[0:3] offset:4352
	;; [unrolled: 28-line block ×3, first 2 shown]
	ds_store_b128 v12, v[8:11] offset:21760
	ds_load_b128 v[0:3], v244 offset:8704
	ds_load_b128 v[8:11], v12 offset:19584
	s_wait_dscnt 0x0
	v_add_f64_e64 v[21:22], v[0:1], -v[8:9]
	v_add_f64_e32 v[23:24], v[2:3], v[10:11]
	v_add_f64_e64 v[2:3], v[2:3], -v[10:11]
	v_add_f64_e32 v[0:1], v[0:1], v[8:9]
	s_delay_alu instid0(VALU_DEP_4) | instskip(NEXT) | instid1(VALU_DEP_4)
	v_mul_f64_e32 v[10:11], 0.5, v[21:22]
	v_mul_f64_e32 v[21:22], 0.5, v[23:24]
	s_delay_alu instid0(VALU_DEP_4) | instskip(SKIP_1) | instid1(VALU_DEP_3)
	v_mul_f64_e32 v[2:3], 0.5, v[2:3]
	s_wait_loadcnt 0x1
	v_mul_f64_e32 v[8:9], v[10:11], v[19:20]
	s_delay_alu instid0(VALU_DEP_2) | instskip(SKIP_1) | instid1(VALU_DEP_3)
	v_fma_f64 v[23:24], v[21:22], v[19:20], v[2:3]
	v_fma_f64 v[19:20], v[21:22], v[19:20], -v[2:3]
	v_fma_f64 v[25:26], v[0:1], 0.5, v[8:9]
	v_fma_f64 v[8:9], v[0:1], 0.5, -v[8:9]
	s_delay_alu instid0(VALU_DEP_4) | instskip(NEXT) | instid1(VALU_DEP_4)
	v_fma_f64 v[2:3], -v[17:18], v[10:11], v[23:24]
	v_fma_f64 v[10:11], -v[17:18], v[10:11], v[19:20]
	s_delay_alu instid0(VALU_DEP_4) | instskip(NEXT) | instid1(VALU_DEP_4)
	v_fma_f64 v[0:1], v[21:22], v[17:18], v[25:26]
	v_fma_f64 v[8:9], -v[21:22], v[17:18], v[8:9]
	ds_store_b128 v244, v[0:3] offset:8704
	ds_store_b128 v12, v[8:11] offset:19584
	ds_load_b128 v[0:3], v244 offset:10880
	ds_load_b128 v[8:11], v12 offset:17408
	s_wait_dscnt 0x0
	v_add_f64_e64 v[17:18], v[0:1], -v[8:9]
	v_add_f64_e32 v[19:20], v[2:3], v[10:11]
	v_add_f64_e64 v[2:3], v[2:3], -v[10:11]
	v_add_f64_e32 v[0:1], v[0:1], v[8:9]
	s_delay_alu instid0(VALU_DEP_4) | instskip(NEXT) | instid1(VALU_DEP_4)
	v_mul_f64_e32 v[10:11], 0.5, v[17:18]
	v_mul_f64_e32 v[17:18], 0.5, v[19:20]
	s_delay_alu instid0(VALU_DEP_4) | instskip(SKIP_1) | instid1(VALU_DEP_3)
	v_mul_f64_e32 v[2:3], 0.5, v[2:3]
	s_wait_loadcnt 0x0
	v_mul_f64_e32 v[8:9], v[10:11], v[15:16]
	s_delay_alu instid0(VALU_DEP_2) | instskip(SKIP_1) | instid1(VALU_DEP_3)
	v_fma_f64 v[19:20], v[17:18], v[15:16], v[2:3]
	v_fma_f64 v[15:16], v[17:18], v[15:16], -v[2:3]
	v_fma_f64 v[21:22], v[0:1], 0.5, v[8:9]
	v_fma_f64 v[8:9], v[0:1], 0.5, -v[8:9]
	s_delay_alu instid0(VALU_DEP_4) | instskip(NEXT) | instid1(VALU_DEP_4)
	v_fma_f64 v[2:3], -v[13:14], v[10:11], v[19:20]
	v_fma_f64 v[10:11], -v[13:14], v[10:11], v[15:16]
	s_delay_alu instid0(VALU_DEP_4) | instskip(NEXT) | instid1(VALU_DEP_4)
	v_fma_f64 v[0:1], v[17:18], v[13:14], v[21:22]
	v_fma_f64 v[8:9], -v[17:18], v[13:14], v[8:9]
	ds_store_b128 v244, v[0:3] offset:10880
	ds_store_b128 v12, v[8:11] offset:17408
	v_cmpx_gt_u32_e32 0x44, v80
	s_cbranch_execz .LBB0_23
; %bb.22:
	global_load_b128 v[0:3], v[6:7], off offset:13056
	ds_load_b128 v[6:9], v244 offset:13056
	ds_load_b128 v[13:16], v12 offset:15232
	s_wait_dscnt 0x0
	v_add_f64_e64 v[10:11], v[6:7], -v[13:14]
	v_add_f64_e32 v[17:18], v[8:9], v[15:16]
	v_add_f64_e64 v[8:9], v[8:9], -v[15:16]
	v_add_f64_e32 v[6:7], v[6:7], v[13:14]
	s_delay_alu instid0(VALU_DEP_4) | instskip(NEXT) | instid1(VALU_DEP_4)
	v_mul_f64_e32 v[10:11], 0.5, v[10:11]
	v_mul_f64_e32 v[15:16], 0.5, v[17:18]
	s_delay_alu instid0(VALU_DEP_4) | instskip(SKIP_1) | instid1(VALU_DEP_3)
	v_mul_f64_e32 v[8:9], 0.5, v[8:9]
	s_wait_loadcnt 0x0
	v_mul_f64_e32 v[13:14], v[10:11], v[2:3]
	s_delay_alu instid0(VALU_DEP_2) | instskip(SKIP_1) | instid1(VALU_DEP_3)
	v_fma_f64 v[17:18], v[15:16], v[2:3], v[8:9]
	v_fma_f64 v[2:3], v[15:16], v[2:3], -v[8:9]
	v_fma_f64 v[19:20], v[6:7], 0.5, v[13:14]
	v_fma_f64 v[13:14], v[6:7], 0.5, -v[13:14]
	s_delay_alu instid0(VALU_DEP_4) | instskip(NEXT) | instid1(VALU_DEP_4)
	v_fma_f64 v[8:9], -v[0:1], v[10:11], v[17:18]
	v_fma_f64 v[2:3], -v[0:1], v[10:11], v[2:3]
	s_delay_alu instid0(VALU_DEP_4) | instskip(NEXT) | instid1(VALU_DEP_4)
	v_fma_f64 v[6:7], v[15:16], v[0:1], v[19:20]
	v_fma_f64 v[0:1], -v[15:16], v[0:1], v[13:14]
	ds_store_b128 v244, v[6:9] offset:13056
	ds_store_b128 v12, v[0:3] offset:15232
.LBB0_23:
	s_wait_alu 0xfffe
	s_or_b32 exec_lo, exec_lo, s1
	global_wb scope:SCOPE_SE
	s_wait_dscnt 0x0
	s_barrier_signal -1
	s_barrier_wait -1
	global_inv scope:SCOPE_SE
	s_and_saveexec_b32 s0, vcc_lo
	s_cbranch_execz .LBB0_26
; %bb.24:
	scratch_load_b64 v[0:1], off, off th:TH_LOAD_LU ; 8-byte Folded Reload
	ds_load_b128 v[6:9], v244
	ds_load_b128 v[10:13], v244 offset:2176
	ds_load_b128 v[14:17], v244 offset:4352
	ds_load_b128 v[18:21], v244 offset:6528
	ds_load_b128 v[22:25], v244 offset:8704
	ds_load_b128 v[26:29], v244 offset:10880
	ds_load_b128 v[30:33], v244 offset:13056
	ds_load_b128 v[34:37], v244 offset:15232
	ds_load_b128 v[38:41], v244 offset:17408
	ds_load_b128 v[42:45], v244 offset:19584
	ds_load_b128 v[46:49], v244 offset:21760
	ds_load_b128 v[50:53], v244 offset:23936
	ds_load_b128 v[54:57], v244 offset:26112
	s_wait_loadcnt 0x0
	v_add_co_u32 v0, vcc_lo, s8, v0
	s_wait_alu 0xfffd
	v_add_co_ci_u32_e32 v1, vcc_lo, s9, v1, vcc_lo
	s_delay_alu instid0(VALU_DEP_2) | instskip(SKIP_1) | instid1(VALU_DEP_2)
	v_add_co_u32 v2, vcc_lo, v0, v4
	s_wait_alu 0xfffd
	v_add_co_ci_u32_e32 v3, vcc_lo, v1, v5, vcc_lo
	v_cmp_eq_u32_e32 vcc_lo, 0x87, v80
	s_wait_dscnt 0xc
	global_store_b128 v[2:3], v[6:9], off
	s_wait_dscnt 0xb
	global_store_b128 v[2:3], v[10:13], off offset:2176
	s_wait_dscnt 0xa
	global_store_b128 v[2:3], v[14:17], off offset:4352
	s_wait_dscnt 0x9
	global_store_b128 v[2:3], v[18:21], off offset:6528
	s_wait_dscnt 0x8
	global_store_b128 v[2:3], v[22:25], off offset:8704
	s_wait_dscnt 0x7
	global_store_b128 v[2:3], v[26:29], off offset:10880
	s_wait_dscnt 0x6
	global_store_b128 v[2:3], v[30:33], off offset:13056
	s_wait_dscnt 0x5
	global_store_b128 v[2:3], v[34:37], off offset:15232
	s_wait_dscnt 0x4
	global_store_b128 v[2:3], v[38:41], off offset:17408
	s_wait_dscnt 0x3
	global_store_b128 v[2:3], v[42:45], off offset:19584
	s_wait_dscnt 0x2
	global_store_b128 v[2:3], v[46:49], off offset:21760
	s_wait_dscnt 0x1
	global_store_b128 v[2:3], v[50:53], off offset:23936
	s_wait_dscnt 0x0
	global_store_b128 v[2:3], v[54:57], off offset:26112
	s_and_b32 exec_lo, exec_lo, vcc_lo
	s_cbranch_execz .LBB0_26
; %bb.25:
	v_mov_b32_e32 v2, 0
	ds_load_b128 v[2:5], v2 offset:28288
	s_wait_dscnt 0x0
	global_store_b128 v[0:1], v[2:5], off offset:28288
.LBB0_26:
	s_nop 0
	s_sendmsg sendmsg(MSG_DEALLOC_VGPRS)
	s_endpgm
	.section	.rodata,"a",@progbits
	.p2align	6, 0x0
	.amdhsa_kernel fft_rtc_fwd_len1768_factors_17_13_8_wgs_136_tpt_136_halfLds_dp_ip_CI_unitstride_sbrr_R2C_dirReg
		.amdhsa_group_segment_fixed_size 0
		.amdhsa_private_segment_fixed_size 12
		.amdhsa_kernarg_size 88
		.amdhsa_user_sgpr_count 2
		.amdhsa_user_sgpr_dispatch_ptr 0
		.amdhsa_user_sgpr_queue_ptr 0
		.amdhsa_user_sgpr_kernarg_segment_ptr 1
		.amdhsa_user_sgpr_dispatch_id 0
		.amdhsa_user_sgpr_private_segment_size 0
		.amdhsa_wavefront_size32 1
		.amdhsa_uses_dynamic_stack 0
		.amdhsa_enable_private_segment 1
		.amdhsa_system_sgpr_workgroup_id_x 1
		.amdhsa_system_sgpr_workgroup_id_y 0
		.amdhsa_system_sgpr_workgroup_id_z 0
		.amdhsa_system_sgpr_workgroup_info 0
		.amdhsa_system_vgpr_workitem_id 0
		.amdhsa_next_free_vgpr 255
		.amdhsa_next_free_sgpr 54
		.amdhsa_reserve_vcc 1
		.amdhsa_float_round_mode_32 0
		.amdhsa_float_round_mode_16_64 0
		.amdhsa_float_denorm_mode_32 3
		.amdhsa_float_denorm_mode_16_64 3
		.amdhsa_fp16_overflow 0
		.amdhsa_workgroup_processor_mode 1
		.amdhsa_memory_ordered 1
		.amdhsa_forward_progress 0
		.amdhsa_round_robin_scheduling 0
		.amdhsa_exception_fp_ieee_invalid_op 0
		.amdhsa_exception_fp_denorm_src 0
		.amdhsa_exception_fp_ieee_div_zero 0
		.amdhsa_exception_fp_ieee_overflow 0
		.amdhsa_exception_fp_ieee_underflow 0
		.amdhsa_exception_fp_ieee_inexact 0
		.amdhsa_exception_int_div_zero 0
	.end_amdhsa_kernel
	.text
.Lfunc_end0:
	.size	fft_rtc_fwd_len1768_factors_17_13_8_wgs_136_tpt_136_halfLds_dp_ip_CI_unitstride_sbrr_R2C_dirReg, .Lfunc_end0-fft_rtc_fwd_len1768_factors_17_13_8_wgs_136_tpt_136_halfLds_dp_ip_CI_unitstride_sbrr_R2C_dirReg
                                        ; -- End function
	.section	.AMDGPU.csdata,"",@progbits
; Kernel info:
; codeLenInByte = 14280
; NumSgprs: 56
; NumVgprs: 255
; ScratchSize: 12
; MemoryBound: 0
; FloatMode: 240
; IeeeMode: 1
; LDSByteSize: 0 bytes/workgroup (compile time only)
; SGPRBlocks: 6
; VGPRBlocks: 31
; NumSGPRsForWavesPerEU: 56
; NumVGPRsForWavesPerEU: 255
; Occupancy: 5
; WaveLimiterHint : 1
; COMPUTE_PGM_RSRC2:SCRATCH_EN: 1
; COMPUTE_PGM_RSRC2:USER_SGPR: 2
; COMPUTE_PGM_RSRC2:TRAP_HANDLER: 0
; COMPUTE_PGM_RSRC2:TGID_X_EN: 1
; COMPUTE_PGM_RSRC2:TGID_Y_EN: 0
; COMPUTE_PGM_RSRC2:TGID_Z_EN: 0
; COMPUTE_PGM_RSRC2:TIDIG_COMP_CNT: 0
	.text
	.p2alignl 7, 3214868480
	.fill 96, 4, 3214868480
	.type	__hip_cuid_b46fd19989e880ea,@object ; @__hip_cuid_b46fd19989e880ea
	.section	.bss,"aw",@nobits
	.globl	__hip_cuid_b46fd19989e880ea
__hip_cuid_b46fd19989e880ea:
	.byte	0                               ; 0x0
	.size	__hip_cuid_b46fd19989e880ea, 1

	.ident	"AMD clang version 19.0.0git (https://github.com/RadeonOpenCompute/llvm-project roc-6.4.0 25133 c7fe45cf4b819c5991fe208aaa96edf142730f1d)"
	.section	".note.GNU-stack","",@progbits
	.addrsig
	.addrsig_sym __hip_cuid_b46fd19989e880ea
	.amdgpu_metadata
---
amdhsa.kernels:
  - .args:
      - .actual_access:  read_only
        .address_space:  global
        .offset:         0
        .size:           8
        .value_kind:     global_buffer
      - .offset:         8
        .size:           8
        .value_kind:     by_value
      - .actual_access:  read_only
        .address_space:  global
        .offset:         16
        .size:           8
        .value_kind:     global_buffer
      - .actual_access:  read_only
        .address_space:  global
        .offset:         24
        .size:           8
        .value_kind:     global_buffer
      - .offset:         32
        .size:           8
        .value_kind:     by_value
      - .actual_access:  read_only
        .address_space:  global
        .offset:         40
        .size:           8
        .value_kind:     global_buffer
      - .actual_access:  read_only
        .address_space:  global
        .offset:         48
        .size:           8
        .value_kind:     global_buffer
      - .offset:         56
        .size:           4
        .value_kind:     by_value
      - .actual_access:  read_only
        .address_space:  global
        .offset:         64
        .size:           8
        .value_kind:     global_buffer
      - .actual_access:  read_only
        .address_space:  global
        .offset:         72
        .size:           8
        .value_kind:     global_buffer
      - .address_space:  global
        .offset:         80
        .size:           8
        .value_kind:     global_buffer
    .group_segment_fixed_size: 0
    .kernarg_segment_align: 8
    .kernarg_segment_size: 88
    .language:       OpenCL C
    .language_version:
      - 2
      - 0
    .max_flat_workgroup_size: 136
    .name:           fft_rtc_fwd_len1768_factors_17_13_8_wgs_136_tpt_136_halfLds_dp_ip_CI_unitstride_sbrr_R2C_dirReg
    .private_segment_fixed_size: 12
    .sgpr_count:     56
    .sgpr_spill_count: 0
    .symbol:         fft_rtc_fwd_len1768_factors_17_13_8_wgs_136_tpt_136_halfLds_dp_ip_CI_unitstride_sbrr_R2C_dirReg.kd
    .uniform_work_group_size: 1
    .uses_dynamic_stack: false
    .vgpr_count:     255
    .vgpr_spill_count: 2
    .wavefront_size: 32
    .workgroup_processor_mode: 1
amdhsa.target:   amdgcn-amd-amdhsa--gfx1201
amdhsa.version:
  - 1
  - 2
...

	.end_amdgpu_metadata
